;; amdgpu-corpus repo=zjin-lcf/HeCBench kind=compiled arch=gfx1030 opt=O3
	.amdgcn_target "amdgcn-amd-amdhsa--gfx1030"
	.amdhsa_code_object_version 6
	.section	.text._Z30addBiasResidualPostLayerNormV2IfLi64EEvPT_PKS0_S3_S3_S3_fi,"axG",@progbits,_Z30addBiasResidualPostLayerNormV2IfLi64EEvPT_PKS0_S3_S3_S3_fi,comdat
	.protected	_Z30addBiasResidualPostLayerNormV2IfLi64EEvPT_PKS0_S3_S3_S3_fi ; -- Begin function _Z30addBiasResidualPostLayerNormV2IfLi64EEvPT_PKS0_S3_S3_S3_fi
	.globl	_Z30addBiasResidualPostLayerNormV2IfLi64EEvPT_PKS0_S3_S3_S3_fi
	.p2align	8
	.type	_Z30addBiasResidualPostLayerNormV2IfLi64EEvPT_PKS0_S3_S3_S3_fi,@function
_Z30addBiasResidualPostLayerNormV2IfLi64EEvPT_PKS0_S3_S3_S3_fi: ; @_Z30addBiasResidualPostLayerNormV2IfLi64EEvPT_PKS0_S3_S3_S3_fi
; %bb.0:
	s_clause 0x2
	s_load_dwordx2 s[12:13], s[4:5], 0x28
	s_load_dword s7, s[4:5], 0x3c
	s_load_dwordx2 s[0:1], s[4:5], 0x10
	s_add_u32 s2, s4, 48
	s_addc_u32 s3, s5, 0
	s_load_dwordx4 s[8:11], s[4:5], 0x0
	v_lshlrev_b32_e32 v4, 3, v0
	s_waitcnt lgkmcnt(0)
	s_mul_i32 s6, s13, s6
	s_and_b32 s7, s7, 0xffff
	s_lshr_b32 s14, s6, 31
	global_load_dwordx2 v[11:12], v4, s[0:1]
	s_add_i32 s6, s6, s14
	s_ashr_i32 s6, s6, 1
	v_add_nc_u32_e32 v1, s6, v0
	v_add_co_u32 v3, s6, s0, v4
	v_add_co_ci_u32_e64 v6, null, s1, 0, s6
	v_add_nc_u32_e32 v5, s7, v1
	s_lshl_b32 s6, s7, 3
	v_ashrrev_i32_e32 v2, 31, v1
	v_add_co_u32 v7, vcc_lo, v3, s6
	v_add_co_ci_u32_e64 v8, null, 0, v6, vcc_lo
	v_ashrrev_i32_e32 v6, 31, v5
	v_lshlrev_b64 v[13:14], 3, v[1:2]
	v_add_nc_u32_e32 v9, s7, v5
	global_load_dwordx2 v[15:16], v[7:8], off
	v_lshlrev_b64 v[5:6], 3, v[5:6]
	v_add_co_u32 v2, vcc_lo, s8, v13
	v_add_co_ci_u32_e64 v3, null, s9, v14, vcc_lo
	v_add_co_u32 v13, vcc_lo, s10, v13
	v_ashrrev_i32_e32 v10, 31, v9
	v_add_co_ci_u32_e64 v14, null, s11, v14, vcc_lo
	v_add_co_u32 v18, vcc_lo, s8, v5
	v_add_nc_u32_e32 v17, s7, v9
	v_add_co_ci_u32_e64 v19, null, s9, v6, vcc_lo
	v_add_co_u32 v5, vcc_lo, s10, v5
	v_add_co_ci_u32_e64 v6, null, s11, v6, vcc_lo
	v_lshlrev_b64 v[9:10], 3, v[9:10]
	global_load_dwordx2 v[20:21], v[2:3], off
	global_load_dwordx2 v[13:14], v[13:14], off
	;; [unrolled: 1-line block ×4, first 2 shown]
	v_ashrrev_i32_e32 v18, 31, v17
	v_add_co_u32 v5, vcc_lo, s8, v9
	v_lshlrev_b64 v[17:18], 3, v[17:18]
	v_add_co_ci_u32_e64 v6, null, s9, v10, vcc_lo
	v_add_co_u32 v9, vcc_lo, s10, v9
	v_add_co_ci_u32_e64 v10, null, s11, v10, vcc_lo
	v_add_co_u32 v7, vcc_lo, v7, s6
	;; [unrolled: 2-line block ×4, first 2 shown]
	v_add_co_ci_u32_e64 v18, null, s11, v18, vcc_lo
	global_load_dwordx2 v[28:29], v[5:6], off
	global_load_dwordx2 v[9:10], v[9:10], off
	global_load_dwordx2 v[30:31], v[7:8], off
	global_load_dwordx2 v[26:27], v[26:27], off
	global_load_dwordx2 v[32:33], v[17:18], off
	v_add_co_u32 v5, vcc_lo, v7, s6
	v_add_co_ci_u32_e64 v6, null, 0, v8, vcc_lo
	v_mbcnt_lo_u32_b32 v17, -1, 0
	global_load_dwordx2 v[34:35], v[5:6], off
	s_waitcnt vmcnt(8)
	v_add_f32_e32 v5, v20, v13
	v_add_f32_e32 v7, v21, v14
	s_waitcnt vmcnt(6)
	v_add_f32_e32 v8, v22, v24
	v_or_b32_e32 v14, 32, v17
	v_xor_b32_e32 v21, 1, v17
	v_add_f32_e32 v6, v5, v11
	v_add_f32_e32 v5, v7, v12
	;; [unrolled: 1-line block ×4, first 2 shown]
	v_cmp_gt_i32_e32 vcc_lo, 64, v14
	v_add_f32_e32 v11, 0, v6
	v_add_f32_e32 v12, 0, v5
	;; [unrolled: 1-line block ×5, first 2 shown]
	s_waitcnt vmcnt(4)
	v_add_f32_e32 v9, v28, v9
	v_add_f32_e32 v10, v29, v10
	s_waitcnt vmcnt(1)
	v_add_f32_e32 v13, v26, v32
	v_add_f32_e32 v9, v9, v30
	;; [unrolled: 1-line block ×6, first 2 shown]
	s_waitcnt vmcnt(0)
	v_add_f32_e32 v10, v10, v35
	v_add_f32_e32 v11, v13, v34
	v_cndmask_b32_e32 v13, v17, v14, vcc_lo
	v_add_f32_e32 v14, v10, v12
	v_add_f32_e32 v15, v11, v15
	v_lshlrev_b32_e32 v12, 2, v13
	v_xor_b32_e32 v13, 16, v17
	v_add_f32_e32 v14, v15, v14
	v_cmp_gt_i32_e32 vcc_lo, 64, v13
	ds_bpermute_b32 v15, v12, v14
	v_cndmask_b32_e32 v13, v17, v13, vcc_lo
	v_lshlrev_b32_e32 v13, 2, v13
	s_waitcnt lgkmcnt(0)
	v_add_f32_e32 v15, v14, v15
	v_xor_b32_e32 v14, 8, v17
	ds_bpermute_b32 v16, v13, v15
	v_cmp_gt_i32_e32 vcc_lo, 64, v14
	v_cndmask_b32_e32 v14, v17, v14, vcc_lo
	v_lshlrev_b32_e32 v14, 2, v14
	s_waitcnt lgkmcnt(0)
	v_add_f32_e32 v16, v15, v16
	v_xor_b32_e32 v15, 4, v17
	ds_bpermute_b32 v19, v14, v16
	v_cmp_gt_i32_e32 vcc_lo, 64, v15
	;; [unrolled: 7-line block ×3, first 2 shown]
	v_cndmask_b32_e32 v16, v17, v16, vcc_lo
	v_cmp_gt_i32_e32 vcc_lo, 64, v21
	v_lshlrev_b32_e32 v16, 2, v16
	v_cndmask_b32_e32 v17, v17, v21, vcc_lo
	v_and_b32_e32 v21, 63, v0
	v_lshlrev_b32_e32 v17, 2, v17
	v_cmp_eq_u32_e64 s0, 0, v21
	s_waitcnt lgkmcnt(0)
	v_add_f32_e32 v19, v19, v20
	ds_bpermute_b32 v20, v16, v19
	s_waitcnt lgkmcnt(0)
	v_add_f32_e32 v22, v19, v20
	v_mov_b32_e32 v19, 0
	v_lshrrev_b32_e32 v20, 4, v0
	ds_bpermute_b32 v23, v17, v22
	s_and_saveexec_b32 s1, s0
	s_cbranch_execz .LBB0_2
; %bb.1:
	s_waitcnt lgkmcnt(0)
	v_add_f32_e32 v22, v22, v23
	ds_write_b32 v20, v22
.LBB0_2:
	s_or_b32 exec_lo, exec_lo, s1
	s_waitcnt lgkmcnt(0)
	s_barrier
	buffer_gl0_inv
	s_load_dword s3, s[2:3], 0xc
	v_lshlrev_b32_e32 v21, 2, v21
	s_waitcnt lgkmcnt(0)
	s_bfe_u32 s1, s3, 0xa0006
	v_cmp_gt_u32_e64 s1, s1, v0
	s_and_saveexec_b32 s2, s1
; %bb.3:
	ds_read_b32 v19, v21
; %bb.4:
	s_or_b32 exec_lo, exec_lo, s2
	s_waitcnt lgkmcnt(0)
	ds_bpermute_b32 v22, v12, v19
	v_cmp_eq_u32_e64 s2, 0, v0
	s_waitcnt lgkmcnt(0)
	v_add_f32_e32 v19, v19, v22
	ds_bpermute_b32 v22, v13, v19
	s_waitcnt lgkmcnt(0)
	v_add_f32_e32 v19, v19, v22
	ds_bpermute_b32 v22, v14, v19
	;; [unrolled: 3-line block ×4, first 2 shown]
	s_waitcnt lgkmcnt(0)
	v_add_f32_e32 v22, v19, v22
	v_cvt_f32_i32_e32 v19, s13
	ds_bpermute_b32 v23, v17, v22
	s_and_saveexec_b32 s6, s2
	s_cbranch_execz .LBB0_6
; %bb.5:
	s_waitcnt lgkmcnt(0)
	v_add_f32_e32 v0, v22, v23
	v_div_scale_f32 v22, null, v19, v19, v0
	v_div_scale_f32 v25, vcc_lo, v0, v19, v0
	v_rcp_f32_e32 v23, v22
	v_fma_f32 v24, -v22, v23, 1.0
	v_fmac_f32_e32 v23, v24, v23
	v_mul_f32_e32 v24, v25, v23
	v_fma_f32 v26, -v22, v24, v25
	v_fmac_f32_e32 v24, v26, v23
	v_fma_f32 v22, -v22, v24, v25
	v_div_fmas_f32 v22, v22, v23, v24
	v_div_fixup_f32 v0, v22, v19, v0
	v_mov_b32_e32 v22, 0
	ds_write_b32 v22, v0 offset:68
.LBB0_6:
	s_or_b32 exec_lo, exec_lo, s6
	v_mov_b32_e32 v22, 0
	s_waitcnt lgkmcnt(0)
	s_barrier
	buffer_gl0_inv
	ds_read_b32 v23, v22 offset:68
	s_waitcnt lgkmcnt(0)
	v_sub_f32_e32 v0, v5, v23
	v_sub_f32_e32 v5, v7, v23
	;; [unrolled: 1-line block ×5, first 2 shown]
	v_mul_f32_e32 v18, v0, v0
	v_mul_f32_e32 v24, v5, v5
	v_sub_f32_e32 v9, v9, v23
	v_sub_f32_e32 v10, v10, v23
	v_mul_f32_e32 v25, v8, v8
	v_fmac_f32_e32 v18, v7, v7
	v_fmac_f32_e32 v24, v6, v6
	v_sub_f32_e32 v11, v11, v23
	v_mul_f32_e32 v23, v10, v10
	v_fmac_f32_e32 v25, v9, v9
	v_add_f32_e32 v18, v18, v24
	v_fmac_f32_e32 v23, v11, v11
	v_add_f32_e32 v18, v18, v25
	v_add_f32_e32 v18, v18, v23
	ds_bpermute_b32 v23, v12, v18
	s_waitcnt lgkmcnt(0)
	v_add_f32_e32 v18, v18, v23
	ds_bpermute_b32 v23, v13, v18
	s_waitcnt lgkmcnt(0)
	;; [unrolled: 3-line block ×5, first 2 shown]
	v_add_f32_e32 v18, v18, v23
	ds_bpermute_b32 v23, v17, v18
	s_and_saveexec_b32 s6, s0
	s_cbranch_execz .LBB0_8
; %bb.7:
	s_waitcnt lgkmcnt(0)
	v_add_f32_e32 v18, v18, v23
	ds_write_b32 v20, v18
.LBB0_8:
	s_or_b32 exec_lo, exec_lo, s6
	s_load_dwordx4 s[4:7], s[4:5], 0x18
	s_waitcnt lgkmcnt(0)
	s_barrier
	buffer_gl0_inv
	s_and_saveexec_b32 s0, s1
; %bb.9:
	ds_read_b32 v22, v21
; %bb.10:
	s_or_b32 exec_lo, exec_lo, s0
	s_waitcnt lgkmcnt(0)
	ds_bpermute_b32 v12, v12, v22
	s_waitcnt lgkmcnt(0)
	v_add_f32_e32 v12, v22, v12
	ds_bpermute_b32 v13, v13, v12
	s_waitcnt lgkmcnt(0)
	v_add_f32_e32 v12, v12, v13
	ds_bpermute_b32 v13, v14, v12
	s_waitcnt lgkmcnt(0)
	v_add_f32_e32 v12, v12, v13
	ds_bpermute_b32 v13, v15, v12
	s_waitcnt lgkmcnt(0)
	v_add_f32_e32 v12, v12, v13
	ds_bpermute_b32 v13, v16, v12
	s_waitcnt lgkmcnt(0)
	v_add_f32_e32 v12, v12, v13
	ds_bpermute_b32 v13, v17, v12
	s_and_saveexec_b32 s0, s2
	s_cbranch_execz .LBB0_12
; %bb.11:
	s_waitcnt lgkmcnt(0)
	v_add_f32_e32 v12, v12, v13
	v_div_scale_f32 v13, null, v19, v19, v12
	v_div_scale_f32 v16, vcc_lo, v12, v19, v12
	v_rcp_f32_e32 v14, v13
	v_fma_f32 v15, -v13, v14, 1.0
	v_fmac_f32_e32 v14, v15, v14
	v_mul_f32_e32 v15, v16, v14
	v_fma_f32 v17, -v13, v15, v16
	v_fmac_f32_e32 v15, v17, v14
	v_fma_f32 v13, -v13, v15, v16
	v_div_fmas_f32 v13, v13, v14, v15
	v_div_fixup_f32 v12, v13, v19, v12
	v_add_f32_e32 v12, s12, v12
	v_mul_f32_e32 v13, 0x4b800000, v12
	v_cmp_gt_f32_e32 vcc_lo, 0x800000, v12
	v_cndmask_b32_e32 v12, v12, v13, vcc_lo
	v_rsq_f32_e32 v12, v12
	v_mul_f32_e32 v13, 0x45800000, v12
	v_cndmask_b32_e32 v12, v12, v13, vcc_lo
	v_mov_b32_e32 v13, 0
	ds_write_b32 v13, v12 offset:64
.LBB0_12:
	s_or_b32 exec_lo, exec_lo, s0
	v_add_co_u32 v12, s1, s4, v4
	s_and_b32 s0, 0xffff, s3
	s_waitcnt lgkmcnt(0)
	v_add_co_ci_u32_e64 v13, null, s5, 0, s1
	v_add_co_u32 v20, s2, s6, v4
	s_lshl_b32 s1, s0, 3
	v_add_co_ci_u32_e64 v21, null, s7, 0, s2
	v_add_co_u32 v12, vcc_lo, v12, s1
	v_add_co_ci_u32_e64 v13, null, 0, v13, vcc_lo
	v_add_co_u32 v20, vcc_lo, v20, s1
	v_add_co_ci_u32_e64 v21, null, 0, v21, vcc_lo
	s_barrier
	buffer_gl0_inv
	s_clause 0x1
	global_load_dwordx2 v[14:15], v4, s[4:5]
	global_load_dwordx2 v[16:17], v4, s[6:7]
	global_load_dwordx2 v[18:19], v[12:13], off
	v_add_co_u32 v12, vcc_lo, v12, s1
	v_add_co_ci_u32_e64 v13, null, 0, v13, vcc_lo
	v_add_co_u32 v22, vcc_lo, v20, s1
	v_add_co_ci_u32_e64 v23, null, 0, v21, vcc_lo
	;; [unrolled: 2-line block ×4, first 2 shown]
	global_load_dwordx2 v[20:21], v[20:21], off
	global_load_dwordx2 v[12:13], v[12:13], off
	;; [unrolled: 1-line block ×5, first 2 shown]
	v_add_nc_u32_e32 v28, s0, v1
	v_mov_b32_e32 v1, 0
	v_add_nc_u32_e32 v30, s0, v28
	ds_read_b32 v1, v1 offset:64
	v_ashrrev_i32_e32 v29, 31, v28
	v_add_nc_u32_e32 v32, s0, v30
	v_ashrrev_i32_e32 v31, 31, v30
	v_lshlrev_b64 v[28:29], 3, v[28:29]
	v_ashrrev_i32_e32 v33, 31, v32
	v_lshlrev_b64 v[30:31], 3, v[30:31]
	v_add_co_u32 v28, vcc_lo, s8, v28
	v_lshlrev_b64 v[32:33], 3, v[32:33]
	v_add_co_ci_u32_e64 v29, null, s9, v29, vcc_lo
	v_add_co_u32 v30, vcc_lo, s8, v30
	v_add_co_ci_u32_e64 v31, null, s9, v31, vcc_lo
	s_waitcnt lgkmcnt(0)
	v_mul_f32_e32 v4, v1, v7
	v_mul_f32_e32 v0, v1, v0
	v_mul_f32_e32 v6, v1, v6
	v_mul_f32_e32 v5, v1, v5
	v_mul_f32_e32 v7, v1, v9
	v_mul_f32_e32 v8, v1, v8
	v_mul_f32_e32 v9, v1, v11
	v_mul_f32_e32 v1, v1, v10
	s_waitcnt vmcnt(6)
	v_fma_f32 v17, v0, v15, v17
	v_fmac_f32_e32 v16, v4, v14
	v_add_co_u32 v0, vcc_lo, s8, v32
	s_waitcnt vmcnt(4)
	v_fma_f32 v21, v5, v19, v21
	v_fmac_f32_e32 v20, v6, v18
	s_waitcnt vmcnt(2)
	v_fma_f32 v23, v8, v13, v23
	v_fmac_f32_e32 v22, v7, v12
	;; [unrolled: 3-line block ×3, first 2 shown]
	v_add_co_ci_u32_e64 v1, null, s9, v33, vcc_lo
	global_store_dwordx2 v[2:3], v[16:17], off
	global_store_dwordx2 v[28:29], v[20:21], off
	;; [unrolled: 1-line block ×4, first 2 shown]
	s_endpgm
	.section	.rodata,"a",@progbits
	.p2align	6, 0x0
	.amdhsa_kernel _Z30addBiasResidualPostLayerNormV2IfLi64EEvPT_PKS0_S3_S3_S3_fi
		.amdhsa_group_segment_fixed_size 72
		.amdhsa_private_segment_fixed_size 0
		.amdhsa_kernarg_size 304
		.amdhsa_user_sgpr_count 6
		.amdhsa_user_sgpr_private_segment_buffer 1
		.amdhsa_user_sgpr_dispatch_ptr 0
		.amdhsa_user_sgpr_queue_ptr 0
		.amdhsa_user_sgpr_kernarg_segment_ptr 1
		.amdhsa_user_sgpr_dispatch_id 0
		.amdhsa_user_sgpr_flat_scratch_init 0
		.amdhsa_user_sgpr_private_segment_size 0
		.amdhsa_wavefront_size32 1
		.amdhsa_uses_dynamic_stack 0
		.amdhsa_system_sgpr_private_segment_wavefront_offset 0
		.amdhsa_system_sgpr_workgroup_id_x 1
		.amdhsa_system_sgpr_workgroup_id_y 0
		.amdhsa_system_sgpr_workgroup_id_z 0
		.amdhsa_system_sgpr_workgroup_info 0
		.amdhsa_system_vgpr_workitem_id 0
		.amdhsa_next_free_vgpr 36
		.amdhsa_next_free_sgpr 15
		.amdhsa_reserve_vcc 1
		.amdhsa_reserve_flat_scratch 0
		.amdhsa_float_round_mode_32 0
		.amdhsa_float_round_mode_16_64 0
		.amdhsa_float_denorm_mode_32 3
		.amdhsa_float_denorm_mode_16_64 3
		.amdhsa_dx10_clamp 1
		.amdhsa_ieee_mode 1
		.amdhsa_fp16_overflow 0
		.amdhsa_workgroup_processor_mode 1
		.amdhsa_memory_ordered 1
		.amdhsa_forward_progress 1
		.amdhsa_shared_vgpr_count 0
		.amdhsa_exception_fp_ieee_invalid_op 0
		.amdhsa_exception_fp_denorm_src 0
		.amdhsa_exception_fp_ieee_div_zero 0
		.amdhsa_exception_fp_ieee_overflow 0
		.amdhsa_exception_fp_ieee_underflow 0
		.amdhsa_exception_fp_ieee_inexact 0
		.amdhsa_exception_int_div_zero 0
	.end_amdhsa_kernel
	.section	.text._Z30addBiasResidualPostLayerNormV2IfLi64EEvPT_PKS0_S3_S3_S3_fi,"axG",@progbits,_Z30addBiasResidualPostLayerNormV2IfLi64EEvPT_PKS0_S3_S3_S3_fi,comdat
.Lfunc_end0:
	.size	_Z30addBiasResidualPostLayerNormV2IfLi64EEvPT_PKS0_S3_S3_S3_fi, .Lfunc_end0-_Z30addBiasResidualPostLayerNormV2IfLi64EEvPT_PKS0_S3_S3_S3_fi
                                        ; -- End function
	.set _Z30addBiasResidualPostLayerNormV2IfLi64EEvPT_PKS0_S3_S3_S3_fi.num_vgpr, 36
	.set _Z30addBiasResidualPostLayerNormV2IfLi64EEvPT_PKS0_S3_S3_S3_fi.num_agpr, 0
	.set _Z30addBiasResidualPostLayerNormV2IfLi64EEvPT_PKS0_S3_S3_S3_fi.numbered_sgpr, 15
	.set _Z30addBiasResidualPostLayerNormV2IfLi64EEvPT_PKS0_S3_S3_S3_fi.num_named_barrier, 0
	.set _Z30addBiasResidualPostLayerNormV2IfLi64EEvPT_PKS0_S3_S3_S3_fi.private_seg_size, 0
	.set _Z30addBiasResidualPostLayerNormV2IfLi64EEvPT_PKS0_S3_S3_S3_fi.uses_vcc, 1
	.set _Z30addBiasResidualPostLayerNormV2IfLi64EEvPT_PKS0_S3_S3_S3_fi.uses_flat_scratch, 0
	.set _Z30addBiasResidualPostLayerNormV2IfLi64EEvPT_PKS0_S3_S3_S3_fi.has_dyn_sized_stack, 0
	.set _Z30addBiasResidualPostLayerNormV2IfLi64EEvPT_PKS0_S3_S3_S3_fi.has_recursion, 0
	.set _Z30addBiasResidualPostLayerNormV2IfLi64EEvPT_PKS0_S3_S3_S3_fi.has_indirect_call, 0
	.section	.AMDGPU.csdata,"",@progbits
; Kernel info:
; codeLenInByte = 2032
; TotalNumSgprs: 17
; NumVgprs: 36
; ScratchSize: 0
; MemoryBound: 0
; FloatMode: 240
; IeeeMode: 1
; LDSByteSize: 72 bytes/workgroup (compile time only)
; SGPRBlocks: 0
; VGPRBlocks: 4
; NumSGPRsForWavesPerEU: 17
; NumVGPRsForWavesPerEU: 36
; Occupancy: 16
; WaveLimiterHint : 0
; COMPUTE_PGM_RSRC2:SCRATCH_EN: 0
; COMPUTE_PGM_RSRC2:USER_SGPR: 6
; COMPUTE_PGM_RSRC2:TRAP_HANDLER: 0
; COMPUTE_PGM_RSRC2:TGID_X_EN: 1
; COMPUTE_PGM_RSRC2:TGID_Y_EN: 0
; COMPUTE_PGM_RSRC2:TGID_Z_EN: 0
; COMPUTE_PGM_RSRC2:TIDIG_COMP_CNT: 0
	.section	.text._Z30addBiasResidualPostLayerNormV2IfLi32EEvPT_PKS0_S3_S3_S3_fi,"axG",@progbits,_Z30addBiasResidualPostLayerNormV2IfLi32EEvPT_PKS0_S3_S3_S3_fi,comdat
	.protected	_Z30addBiasResidualPostLayerNormV2IfLi32EEvPT_PKS0_S3_S3_S3_fi ; -- Begin function _Z30addBiasResidualPostLayerNormV2IfLi32EEvPT_PKS0_S3_S3_S3_fi
	.globl	_Z30addBiasResidualPostLayerNormV2IfLi32EEvPT_PKS0_S3_S3_S3_fi
	.p2align	8
	.type	_Z30addBiasResidualPostLayerNormV2IfLi32EEvPT_PKS0_S3_S3_S3_fi,@function
_Z30addBiasResidualPostLayerNormV2IfLi32EEvPT_PKS0_S3_S3_S3_fi: ; @_Z30addBiasResidualPostLayerNormV2IfLi32EEvPT_PKS0_S3_S3_S3_fi
; %bb.0:
	s_clause 0x2
	s_load_dwordx2 s[12:13], s[4:5], 0x28
	s_load_dword s7, s[4:5], 0x3c
	s_load_dwordx2 s[0:1], s[4:5], 0x10
	s_add_u32 s2, s4, 48
	s_addc_u32 s3, s5, 0
	s_load_dwordx4 s[8:11], s[4:5], 0x0
	v_lshlrev_b32_e32 v4, 3, v0
	s_waitcnt lgkmcnt(0)
	s_mul_i32 s6, s13, s6
	s_and_b32 s7, s7, 0xffff
	s_lshr_b32 s14, s6, 31
	global_load_dwordx2 v[11:12], v4, s[0:1]
	s_add_i32 s6, s6, s14
	s_ashr_i32 s6, s6, 1
	v_add_nc_u32_e32 v1, s6, v0
	v_add_co_u32 v3, s6, s0, v4
	v_add_co_ci_u32_e64 v6, null, s1, 0, s6
	v_add_nc_u32_e32 v5, s7, v1
	s_lshl_b32 s6, s7, 3
	v_ashrrev_i32_e32 v2, 31, v1
	v_add_co_u32 v7, vcc_lo, v3, s6
	v_add_co_ci_u32_e64 v8, null, 0, v6, vcc_lo
	v_ashrrev_i32_e32 v6, 31, v5
	v_lshlrev_b64 v[13:14], 3, v[1:2]
	v_add_nc_u32_e32 v9, s7, v5
	global_load_dwordx2 v[15:16], v[7:8], off
	v_lshlrev_b64 v[5:6], 3, v[5:6]
	v_add_co_u32 v2, vcc_lo, s8, v13
	v_add_co_ci_u32_e64 v3, null, s9, v14, vcc_lo
	v_add_co_u32 v13, vcc_lo, s10, v13
	v_ashrrev_i32_e32 v10, 31, v9
	v_add_co_ci_u32_e64 v14, null, s11, v14, vcc_lo
	v_add_co_u32 v18, vcc_lo, s8, v5
	v_add_nc_u32_e32 v17, s7, v9
	v_add_co_ci_u32_e64 v19, null, s9, v6, vcc_lo
	v_add_co_u32 v5, vcc_lo, s10, v5
	v_add_co_ci_u32_e64 v6, null, s11, v6, vcc_lo
	v_lshlrev_b64 v[9:10], 3, v[9:10]
	global_load_dwordx2 v[20:21], v[2:3], off
	global_load_dwordx2 v[13:14], v[13:14], off
	global_load_dwordx2 v[22:23], v[18:19], off
	global_load_dwordx2 v[24:25], v[5:6], off
	v_ashrrev_i32_e32 v18, 31, v17
	v_add_co_u32 v5, vcc_lo, s8, v9
	v_lshlrev_b64 v[17:18], 3, v[17:18]
	v_add_co_ci_u32_e64 v6, null, s9, v10, vcc_lo
	v_add_co_u32 v9, vcc_lo, s10, v9
	v_add_co_ci_u32_e64 v10, null, s11, v10, vcc_lo
	v_add_co_u32 v7, vcc_lo, v7, s6
	;; [unrolled: 2-line block ×4, first 2 shown]
	v_add_co_ci_u32_e64 v18, null, s11, v18, vcc_lo
	global_load_dwordx2 v[28:29], v[5:6], off
	global_load_dwordx2 v[9:10], v[9:10], off
	;; [unrolled: 1-line block ×5, first 2 shown]
	v_add_co_u32 v5, vcc_lo, v7, s6
	v_add_co_ci_u32_e64 v6, null, 0, v8, vcc_lo
	global_load_dwordx2 v[32:33], v[5:6], off
	s_waitcnt vmcnt(8)
	v_add_f32_e32 v5, v20, v13
	v_add_f32_e32 v7, v21, v14
	s_waitcnt vmcnt(6)
	v_add_f32_e32 v8, v22, v24
	v_add_f32_e32 v6, v5, v11
	;; [unrolled: 1-line block ×8, first 2 shown]
	v_mbcnt_lo_u32_b32 v16, -1, 0
	v_add_f32_e32 v11, v8, v11
	v_add_f32_e32 v12, v7, v12
	v_xor_b32_e32 v14, 16, v16
	v_xor_b32_e32 v20, 1, v16
	v_cmp_gt_i32_e32 vcc_lo, 32, v14
	s_waitcnt vmcnt(4)
	v_add_f32_e32 v9, v28, v9
	v_add_f32_e32 v10, v29, v10
	s_waitcnt vmcnt(1)
	v_add_f32_e32 v13, v26, v18
	v_add_f32_e32 v9, v9, v30
	v_add_f32_e32 v17, v10, v31
	v_add_f32_e32 v10, v27, v19
	v_add_f32_e32 v15, v9, v11
	v_add_f32_e32 v12, v17, v12
	s_waitcnt vmcnt(0)
	v_add_f32_e32 v10, v10, v33
	v_add_f32_e32 v11, v13, v32
	v_cndmask_b32_e32 v13, v16, v14, vcc_lo
	v_add_f32_e32 v14, v10, v12
	v_add_f32_e32 v15, v11, v15
	v_lshlrev_b32_e32 v12, 2, v13
	v_xor_b32_e32 v13, 8, v16
	v_add_f32_e32 v14, v15, v14
	v_cmp_gt_i32_e32 vcc_lo, 32, v13
	ds_bpermute_b32 v15, v12, v14
	v_cndmask_b32_e32 v13, v16, v13, vcc_lo
	v_lshlrev_b32_e32 v13, 2, v13
	s_waitcnt lgkmcnt(0)
	v_add_f32_e32 v15, v14, v15
	v_xor_b32_e32 v14, 4, v16
	ds_bpermute_b32 v18, v13, v15
	v_cmp_gt_i32_e32 vcc_lo, 32, v14
	v_cndmask_b32_e32 v14, v16, v14, vcc_lo
	v_lshlrev_b32_e32 v14, 2, v14
	s_waitcnt lgkmcnt(0)
	v_add_f32_e32 v18, v15, v18
	v_xor_b32_e32 v15, 2, v16
	ds_bpermute_b32 v19, v14, v18
	v_cmp_gt_i32_e32 vcc_lo, 32, v15
	v_cndmask_b32_e32 v15, v16, v15, vcc_lo
	v_cmp_gt_i32_e32 vcc_lo, 32, v20
	v_lshlrev_b32_e32 v15, 2, v15
	v_cndmask_b32_e32 v16, v16, v20, vcc_lo
	v_and_b32_e32 v20, 31, v0
	v_lshlrev_b32_e32 v16, 2, v16
	v_cmp_eq_u32_e64 s0, 0, v20
	s_waitcnt lgkmcnt(0)
	v_add_f32_e32 v18, v18, v19
	ds_bpermute_b32 v19, v15, v18
	s_waitcnt lgkmcnt(0)
	v_add_f32_e32 v21, v18, v19
	v_mov_b32_e32 v18, 0
	v_lshrrev_b32_e32 v19, 3, v0
	ds_bpermute_b32 v22, v16, v21
	s_and_saveexec_b32 s1, s0
	s_cbranch_execz .LBB1_2
; %bb.1:
	s_waitcnt lgkmcnt(0)
	v_add_f32_e32 v21, v21, v22
	ds_write_b32 v19, v21
.LBB1_2:
	s_or_b32 exec_lo, exec_lo, s1
	s_waitcnt lgkmcnt(0)
	s_barrier
	buffer_gl0_inv
	s_load_dword s3, s[2:3], 0xc
	v_lshlrev_b32_e32 v20, 2, v20
	s_waitcnt lgkmcnt(0)
	s_bfe_u32 s1, s3, 0xb0005
	v_cmp_gt_u32_e64 s1, s1, v0
	s_and_saveexec_b32 s2, s1
; %bb.3:
	ds_read_b32 v18, v20
; %bb.4:
	s_or_b32 exec_lo, exec_lo, s2
	s_waitcnt lgkmcnt(0)
	ds_bpermute_b32 v21, v12, v18
	v_cmp_eq_u32_e64 s2, 0, v0
	s_waitcnt lgkmcnt(0)
	v_add_f32_e32 v18, v18, v21
	ds_bpermute_b32 v21, v13, v18
	s_waitcnt lgkmcnt(0)
	v_add_f32_e32 v18, v18, v21
	ds_bpermute_b32 v21, v14, v18
	;; [unrolled: 3-line block ×3, first 2 shown]
	s_waitcnt lgkmcnt(0)
	v_add_f32_e32 v21, v18, v21
	v_cvt_f32_i32_e32 v18, s13
	ds_bpermute_b32 v22, v16, v21
	s_and_saveexec_b32 s6, s2
	s_cbranch_execz .LBB1_6
; %bb.5:
	s_waitcnt lgkmcnt(0)
	v_add_f32_e32 v0, v21, v22
	v_div_scale_f32 v21, null, v18, v18, v0
	v_div_scale_f32 v24, vcc_lo, v0, v18, v0
	v_rcp_f32_e32 v22, v21
	v_fma_f32 v23, -v21, v22, 1.0
	v_fmac_f32_e32 v22, v23, v22
	v_mul_f32_e32 v23, v24, v22
	v_fma_f32 v25, -v21, v23, v24
	v_fmac_f32_e32 v23, v25, v22
	v_fma_f32 v21, -v21, v23, v24
	v_div_fmas_f32 v21, v21, v22, v23
	v_div_fixup_f32 v0, v21, v18, v0
	v_mov_b32_e32 v21, 0
	ds_write_b32 v21, v0 offset:132
.LBB1_6:
	s_or_b32 exec_lo, exec_lo, s6
	v_mov_b32_e32 v21, 0
	s_waitcnt lgkmcnt(0)
	s_barrier
	buffer_gl0_inv
	ds_read_b32 v22, v21 offset:132
	s_waitcnt lgkmcnt(0)
	v_sub_f32_e32 v0, v5, v22
	v_sub_f32_e32 v5, v7, v22
	;; [unrolled: 1-line block ×5, first 2 shown]
	v_mul_f32_e32 v17, v0, v0
	v_mul_f32_e32 v23, v5, v5
	v_sub_f32_e32 v9, v9, v22
	v_sub_f32_e32 v10, v10, v22
	v_mul_f32_e32 v24, v8, v8
	v_fmac_f32_e32 v17, v7, v7
	v_fmac_f32_e32 v23, v6, v6
	v_sub_f32_e32 v11, v11, v22
	v_mul_f32_e32 v22, v10, v10
	v_fmac_f32_e32 v24, v9, v9
	v_add_f32_e32 v17, v17, v23
	v_fmac_f32_e32 v22, v11, v11
	v_add_f32_e32 v17, v17, v24
	v_add_f32_e32 v17, v17, v22
	ds_bpermute_b32 v22, v12, v17
	s_waitcnt lgkmcnt(0)
	v_add_f32_e32 v17, v17, v22
	ds_bpermute_b32 v22, v13, v17
	s_waitcnt lgkmcnt(0)
	;; [unrolled: 3-line block ×4, first 2 shown]
	v_add_f32_e32 v17, v17, v22
	ds_bpermute_b32 v22, v16, v17
	s_and_saveexec_b32 s6, s0
	s_cbranch_execz .LBB1_8
; %bb.7:
	s_waitcnt lgkmcnt(0)
	v_add_f32_e32 v17, v17, v22
	ds_write_b32 v19, v17
.LBB1_8:
	s_or_b32 exec_lo, exec_lo, s6
	s_load_dwordx4 s[4:7], s[4:5], 0x18
	s_waitcnt lgkmcnt(0)
	s_barrier
	buffer_gl0_inv
	s_and_saveexec_b32 s0, s1
; %bb.9:
	ds_read_b32 v21, v20
; %bb.10:
	s_or_b32 exec_lo, exec_lo, s0
	s_waitcnt lgkmcnt(0)
	ds_bpermute_b32 v12, v12, v21
	s_waitcnt lgkmcnt(0)
	v_add_f32_e32 v12, v21, v12
	ds_bpermute_b32 v13, v13, v12
	s_waitcnt lgkmcnt(0)
	v_add_f32_e32 v12, v12, v13
	;; [unrolled: 3-line block ×4, first 2 shown]
	ds_bpermute_b32 v13, v16, v12
	s_and_saveexec_b32 s0, s2
	s_cbranch_execz .LBB1_12
; %bb.11:
	s_waitcnt lgkmcnt(0)
	v_add_f32_e32 v12, v12, v13
	v_div_scale_f32 v13, null, v18, v18, v12
	v_div_scale_f32 v16, vcc_lo, v12, v18, v12
	v_rcp_f32_e32 v14, v13
	v_fma_f32 v15, -v13, v14, 1.0
	v_fmac_f32_e32 v14, v15, v14
	v_mul_f32_e32 v15, v16, v14
	v_fma_f32 v17, -v13, v15, v16
	v_fmac_f32_e32 v15, v17, v14
	v_fma_f32 v13, -v13, v15, v16
	v_div_fmas_f32 v13, v13, v14, v15
	v_div_fixup_f32 v12, v13, v18, v12
	v_add_f32_e32 v12, s12, v12
	v_mul_f32_e32 v13, 0x4b800000, v12
	v_cmp_gt_f32_e32 vcc_lo, 0x800000, v12
	v_cndmask_b32_e32 v12, v12, v13, vcc_lo
	v_rsq_f32_e32 v12, v12
	v_mul_f32_e32 v13, 0x45800000, v12
	v_cndmask_b32_e32 v12, v12, v13, vcc_lo
	v_mov_b32_e32 v13, 0
	ds_write_b32 v13, v12 offset:128
.LBB1_12:
	s_or_b32 exec_lo, exec_lo, s0
	v_add_co_u32 v12, s1, s4, v4
	s_and_b32 s0, 0xffff, s3
	s_waitcnt lgkmcnt(0)
	v_add_co_ci_u32_e64 v13, null, s5, 0, s1
	v_add_co_u32 v20, s2, s6, v4
	s_lshl_b32 s1, s0, 3
	v_add_co_ci_u32_e64 v21, null, s7, 0, s2
	v_add_co_u32 v12, vcc_lo, v12, s1
	v_add_co_ci_u32_e64 v13, null, 0, v13, vcc_lo
	v_add_co_u32 v20, vcc_lo, v20, s1
	v_add_co_ci_u32_e64 v21, null, 0, v21, vcc_lo
	s_barrier
	buffer_gl0_inv
	s_clause 0x1
	global_load_dwordx2 v[14:15], v4, s[4:5]
	global_load_dwordx2 v[16:17], v4, s[6:7]
	global_load_dwordx2 v[18:19], v[12:13], off
	v_add_co_u32 v12, vcc_lo, v12, s1
	v_add_co_ci_u32_e64 v13, null, 0, v13, vcc_lo
	v_add_co_u32 v22, vcc_lo, v20, s1
	v_add_co_ci_u32_e64 v23, null, 0, v21, vcc_lo
	;; [unrolled: 2-line block ×4, first 2 shown]
	global_load_dwordx2 v[20:21], v[20:21], off
	global_load_dwordx2 v[12:13], v[12:13], off
	;; [unrolled: 1-line block ×5, first 2 shown]
	v_add_nc_u32_e32 v28, s0, v1
	v_mov_b32_e32 v1, 0
	v_add_nc_u32_e32 v30, s0, v28
	ds_read_b32 v1, v1 offset:128
	v_ashrrev_i32_e32 v29, 31, v28
	v_add_nc_u32_e32 v32, s0, v30
	v_ashrrev_i32_e32 v31, 31, v30
	v_lshlrev_b64 v[28:29], 3, v[28:29]
	v_ashrrev_i32_e32 v33, 31, v32
	v_lshlrev_b64 v[30:31], 3, v[30:31]
	v_add_co_u32 v28, vcc_lo, s8, v28
	v_lshlrev_b64 v[32:33], 3, v[32:33]
	v_add_co_ci_u32_e64 v29, null, s9, v29, vcc_lo
	v_add_co_u32 v30, vcc_lo, s8, v30
	v_add_co_ci_u32_e64 v31, null, s9, v31, vcc_lo
	s_waitcnt lgkmcnt(0)
	v_mul_f32_e32 v4, v1, v7
	v_mul_f32_e32 v0, v1, v0
	;; [unrolled: 1-line block ×8, first 2 shown]
	s_waitcnt vmcnt(6)
	v_fma_f32 v17, v0, v15, v17
	v_fmac_f32_e32 v16, v4, v14
	v_add_co_u32 v0, vcc_lo, s8, v32
	s_waitcnt vmcnt(4)
	v_fma_f32 v21, v5, v19, v21
	v_fmac_f32_e32 v20, v6, v18
	s_waitcnt vmcnt(2)
	v_fma_f32 v23, v8, v13, v23
	v_fmac_f32_e32 v22, v7, v12
	;; [unrolled: 3-line block ×3, first 2 shown]
	v_add_co_ci_u32_e64 v1, null, s9, v33, vcc_lo
	global_store_dwordx2 v[2:3], v[16:17], off
	global_store_dwordx2 v[28:29], v[20:21], off
	global_store_dwordx2 v[30:31], v[22:23], off
	global_store_dwordx2 v[0:1], v[26:27], off
	s_endpgm
	.section	.rodata,"a",@progbits
	.p2align	6, 0x0
	.amdhsa_kernel _Z30addBiasResidualPostLayerNormV2IfLi32EEvPT_PKS0_S3_S3_S3_fi
		.amdhsa_group_segment_fixed_size 136
		.amdhsa_private_segment_fixed_size 0
		.amdhsa_kernarg_size 304
		.amdhsa_user_sgpr_count 6
		.amdhsa_user_sgpr_private_segment_buffer 1
		.amdhsa_user_sgpr_dispatch_ptr 0
		.amdhsa_user_sgpr_queue_ptr 0
		.amdhsa_user_sgpr_kernarg_segment_ptr 1
		.amdhsa_user_sgpr_dispatch_id 0
		.amdhsa_user_sgpr_flat_scratch_init 0
		.amdhsa_user_sgpr_private_segment_size 0
		.amdhsa_wavefront_size32 1
		.amdhsa_uses_dynamic_stack 0
		.amdhsa_system_sgpr_private_segment_wavefront_offset 0
		.amdhsa_system_sgpr_workgroup_id_x 1
		.amdhsa_system_sgpr_workgroup_id_y 0
		.amdhsa_system_sgpr_workgroup_id_z 0
		.amdhsa_system_sgpr_workgroup_info 0
		.amdhsa_system_vgpr_workitem_id 0
		.amdhsa_next_free_vgpr 34
		.amdhsa_next_free_sgpr 15
		.amdhsa_reserve_vcc 1
		.amdhsa_reserve_flat_scratch 0
		.amdhsa_float_round_mode_32 0
		.amdhsa_float_round_mode_16_64 0
		.amdhsa_float_denorm_mode_32 3
		.amdhsa_float_denorm_mode_16_64 3
		.amdhsa_dx10_clamp 1
		.amdhsa_ieee_mode 1
		.amdhsa_fp16_overflow 0
		.amdhsa_workgroup_processor_mode 1
		.amdhsa_memory_ordered 1
		.amdhsa_forward_progress 1
		.amdhsa_shared_vgpr_count 0
		.amdhsa_exception_fp_ieee_invalid_op 0
		.amdhsa_exception_fp_denorm_src 0
		.amdhsa_exception_fp_ieee_div_zero 0
		.amdhsa_exception_fp_ieee_overflow 0
		.amdhsa_exception_fp_ieee_underflow 0
		.amdhsa_exception_fp_ieee_inexact 0
		.amdhsa_exception_int_div_zero 0
	.end_amdhsa_kernel
	.section	.text._Z30addBiasResidualPostLayerNormV2IfLi32EEvPT_PKS0_S3_S3_S3_fi,"axG",@progbits,_Z30addBiasResidualPostLayerNormV2IfLi32EEvPT_PKS0_S3_S3_S3_fi,comdat
.Lfunc_end1:
	.size	_Z30addBiasResidualPostLayerNormV2IfLi32EEvPT_PKS0_S3_S3_S3_fi, .Lfunc_end1-_Z30addBiasResidualPostLayerNormV2IfLi32EEvPT_PKS0_S3_S3_S3_fi
                                        ; -- End function
	.set _Z30addBiasResidualPostLayerNormV2IfLi32EEvPT_PKS0_S3_S3_S3_fi.num_vgpr, 34
	.set _Z30addBiasResidualPostLayerNormV2IfLi32EEvPT_PKS0_S3_S3_S3_fi.num_agpr, 0
	.set _Z30addBiasResidualPostLayerNormV2IfLi32EEvPT_PKS0_S3_S3_S3_fi.numbered_sgpr, 15
	.set _Z30addBiasResidualPostLayerNormV2IfLi32EEvPT_PKS0_S3_S3_S3_fi.num_named_barrier, 0
	.set _Z30addBiasResidualPostLayerNormV2IfLi32EEvPT_PKS0_S3_S3_S3_fi.private_seg_size, 0
	.set _Z30addBiasResidualPostLayerNormV2IfLi32EEvPT_PKS0_S3_S3_S3_fi.uses_vcc, 1
	.set _Z30addBiasResidualPostLayerNormV2IfLi32EEvPT_PKS0_S3_S3_S3_fi.uses_flat_scratch, 0
	.set _Z30addBiasResidualPostLayerNormV2IfLi32EEvPT_PKS0_S3_S3_S3_fi.has_dyn_sized_stack, 0
	.set _Z30addBiasResidualPostLayerNormV2IfLi32EEvPT_PKS0_S3_S3_S3_fi.has_recursion, 0
	.set _Z30addBiasResidualPostLayerNormV2IfLi32EEvPT_PKS0_S3_S3_S3_fi.has_indirect_call, 0
	.section	.AMDGPU.csdata,"",@progbits
; Kernel info:
; codeLenInByte = 1952
; TotalNumSgprs: 17
; NumVgprs: 34
; ScratchSize: 0
; MemoryBound: 0
; FloatMode: 240
; IeeeMode: 1
; LDSByteSize: 136 bytes/workgroup (compile time only)
; SGPRBlocks: 0
; VGPRBlocks: 4
; NumSGPRsForWavesPerEU: 17
; NumVGPRsForWavesPerEU: 34
; Occupancy: 16
; WaveLimiterHint : 0
; COMPUTE_PGM_RSRC2:SCRATCH_EN: 0
; COMPUTE_PGM_RSRC2:USER_SGPR: 6
; COMPUTE_PGM_RSRC2:TRAP_HANDLER: 0
; COMPUTE_PGM_RSRC2:TGID_X_EN: 1
; COMPUTE_PGM_RSRC2:TGID_Y_EN: 0
; COMPUTE_PGM_RSRC2:TGID_Z_EN: 0
; COMPUTE_PGM_RSRC2:TIDIG_COMP_CNT: 0
	.section	.text._Z28addBiasResidualPostLayerNormIfLi1ELi64EEvPT_PKS0_S3_S3_S3_fi,"axG",@progbits,_Z28addBiasResidualPostLayerNormIfLi1ELi64EEvPT_PKS0_S3_S3_S3_fi,comdat
	.protected	_Z28addBiasResidualPostLayerNormIfLi1ELi64EEvPT_PKS0_S3_S3_S3_fi ; -- Begin function _Z28addBiasResidualPostLayerNormIfLi1ELi64EEvPT_PKS0_S3_S3_S3_fi
	.globl	_Z28addBiasResidualPostLayerNormIfLi1ELi64EEvPT_PKS0_S3_S3_S3_fi
	.p2align	8
	.type	_Z28addBiasResidualPostLayerNormIfLi1ELi64EEvPT_PKS0_S3_S3_S3_fi,@function
_Z28addBiasResidualPostLayerNormIfLi1ELi64EEvPT_PKS0_S3_S3_S3_fi: ; @_Z28addBiasResidualPostLayerNormIfLi1ELi64EEvPT_PKS0_S3_S3_S3_fi
; %bb.0:
	s_clause 0x1
	s_load_dwordx2 s[10:11], s[4:5], 0x28
	s_load_dwordx2 s[8:9], s[4:5], 0x0
	v_mov_b32_e32 v5, 0
	v_lshlrev_b32_e32 v1, 2, v0
                                        ; implicit-def: $vgpr2
	s_waitcnt lgkmcnt(0)
	v_cmp_gt_i32_e64 s0, s11, v0
	s_and_saveexec_b32 s1, s0
	s_cbranch_execz .LBB2_2
; %bb.1:
	s_load_dwordx4 s[12:15], s[4:5], 0x8
	v_mad_u64_u32 v[2:3], null, s11, s6, v[0:1]
	v_mov_b32_e32 v3, 0
	v_lshlrev_b64 v[2:3], 2, v[2:3]
	v_add_co_u32 v4, vcc_lo, s8, v2
	v_add_co_ci_u32_e64 v5, null, s9, v3, vcc_lo
	s_waitcnt lgkmcnt(0)
	v_add_co_u32 v2, vcc_lo, s12, v2
	v_add_co_ci_u32_e64 v3, null, s13, v3, vcc_lo
	global_load_dword v4, v[4:5], off
	global_load_dword v2, v[2:3], off
	global_load_dword v3, v1, s[14:15]
	s_waitcnt vmcnt(1)
	v_add_f32_e32 v2, v4, v2
	s_waitcnt vmcnt(0)
	v_add_f32_e32 v2, v2, v3
	v_add_f32_e32 v5, 0, v2
.LBB2_2:
	s_or_b32 exec_lo, exec_lo, s1
	v_mbcnt_lo_u32_b32 v8, -1, 0
	v_or_b32_e32 v3, 32, v8
	v_xor_b32_e32 v4, 16, v8
	v_xor_b32_e32 v11, 1, v8
	v_cmp_gt_i32_e32 vcc_lo, 64, v3
	v_cndmask_b32_e32 v3, v8, v3, vcc_lo
	v_cmp_gt_i32_e32 vcc_lo, 64, v4
	v_lshlrev_b32_e32 v3, 2, v3
	v_cndmask_b32_e32 v4, v8, v4, vcc_lo
	ds_bpermute_b32 v6, v3, v5
	v_lshlrev_b32_e32 v4, 2, v4
	s_waitcnt lgkmcnt(0)
	v_add_f32_e32 v6, v5, v6
	v_xor_b32_e32 v5, 8, v8
	ds_bpermute_b32 v7, v4, v6
	v_cmp_gt_i32_e32 vcc_lo, 64, v5
	v_cndmask_b32_e32 v5, v8, v5, vcc_lo
	v_lshlrev_b32_e32 v5, 2, v5
	s_waitcnt lgkmcnt(0)
	v_add_f32_e32 v7, v6, v7
	v_xor_b32_e32 v6, 4, v8
	ds_bpermute_b32 v9, v5, v7
	v_cmp_gt_i32_e32 vcc_lo, 64, v6
	v_cndmask_b32_e32 v6, v8, v6, vcc_lo
	;; [unrolled: 7-line block ×3, first 2 shown]
	v_cmp_gt_i32_e32 vcc_lo, 64, v11
	v_lshlrev_b32_e32 v7, 2, v7
	v_cndmask_b32_e32 v8, v8, v11, vcc_lo
	v_lshlrev_b32_e32 v8, 2, v8
	s_waitcnt lgkmcnt(0)
	v_add_f32_e32 v9, v9, v10
	ds_bpermute_b32 v10, v7, v9
	s_waitcnt lgkmcnt(0)
	v_add_f32_e32 v11, v9, v10
	v_and_b32_e32 v9, 63, v0
	v_lshrrev_b32_e32 v10, 4, v0
	ds_bpermute_b32 v12, v8, v11
	v_cmp_eq_u32_e64 s1, 0, v9
	s_and_saveexec_b32 s2, s1
	s_cbranch_execz .LBB2_4
; %bb.3:
	s_waitcnt lgkmcnt(0)
	v_add_f32_e32 v11, v11, v12
	ds_write_b32 v10, v11
.LBB2_4:
	s_or_b32 exec_lo, exec_lo, s2
	s_waitcnt lgkmcnt(0)
	s_barrier
	buffer_gl0_inv
	s_load_dword s2, s[4:5], 0x3c
	v_mov_b32_e32 v12, 0
	v_lshlrev_b32_e32 v11, 2, v9
	s_waitcnt lgkmcnt(0)
	s_bfe_u32 s2, s2, 0xa0006
	v_cmp_gt_u32_e64 s2, s2, v0
	s_and_saveexec_b32 s3, s2
; %bb.5:
	ds_read_b32 v12, v11
; %bb.6:
	s_or_b32 exec_lo, exec_lo, s3
	s_waitcnt lgkmcnt(0)
	ds_bpermute_b32 v9, v3, v12
	v_cmp_eq_u32_e64 s3, 0, v0
	s_waitcnt lgkmcnt(0)
	v_add_f32_e32 v9, v12, v9
	ds_bpermute_b32 v12, v4, v9
	s_waitcnt lgkmcnt(0)
	v_add_f32_e32 v9, v9, v12
	ds_bpermute_b32 v12, v5, v9
	;; [unrolled: 3-line block ×4, first 2 shown]
	s_waitcnt lgkmcnt(0)
	v_add_f32_e32 v12, v9, v12
	v_cvt_f32_i32_e32 v9, s11
	ds_bpermute_b32 v13, v8, v12
	s_and_saveexec_b32 s7, s3
	s_cbranch_execz .LBB2_8
; %bb.7:
	s_waitcnt lgkmcnt(0)
	v_add_f32_e32 v12, v12, v13
	v_div_scale_f32 v13, null, v9, v9, v12
	v_div_scale_f32 v16, vcc_lo, v12, v9, v12
	v_rcp_f32_e32 v14, v13
	v_fma_f32 v15, -v13, v14, 1.0
	v_fmac_f32_e32 v14, v15, v14
	v_mul_f32_e32 v15, v16, v14
	v_fma_f32 v17, -v13, v15, v16
	v_fmac_f32_e32 v15, v17, v14
	v_fma_f32 v13, -v13, v15, v16
	v_div_fmas_f32 v13, v13, v14, v15
	v_div_fixup_f32 v12, v13, v9, v12
	v_mov_b32_e32 v13, 0
	ds_write_b32 v13, v12 offset:68
.LBB2_8:
	s_or_b32 exec_lo, exec_lo, s7
	v_mov_b32_e32 v12, 0
	s_waitcnt lgkmcnt(0)
	s_barrier
	buffer_gl0_inv
	ds_read_b32 v13, v12 offset:68
	s_waitcnt lgkmcnt(0)
	v_sub_f32_e32 v13, v2, v13
	v_mul_f32_e32 v13, v13, v13
	v_cndmask_b32_e64 v13, 0, v13, s0
	ds_bpermute_b32 v14, v3, v13
	s_waitcnt lgkmcnt(0)
	v_add_f32_e32 v13, v13, v14
	ds_bpermute_b32 v14, v4, v13
	s_waitcnt lgkmcnt(0)
	v_add_f32_e32 v13, v13, v14
	;; [unrolled: 3-line block ×5, first 2 shown]
	ds_bpermute_b32 v14, v8, v13
	s_and_saveexec_b32 s7, s1
	s_cbranch_execz .LBB2_10
; %bb.9:
	s_waitcnt lgkmcnt(0)
	v_add_f32_e32 v13, v13, v14
	ds_write_b32 v10, v13
.LBB2_10:
	s_or_b32 exec_lo, exec_lo, s7
	s_waitcnt lgkmcnt(0)
	s_barrier
	buffer_gl0_inv
	s_and_saveexec_b32 s1, s2
; %bb.11:
	ds_read_b32 v12, v11
; %bb.12:
	s_or_b32 exec_lo, exec_lo, s1
	s_waitcnt lgkmcnt(0)
	ds_bpermute_b32 v3, v3, v12
	s_waitcnt lgkmcnt(0)
	v_add_f32_e32 v3, v12, v3
	ds_bpermute_b32 v4, v4, v3
	s_waitcnt lgkmcnt(0)
	v_add_f32_e32 v3, v3, v4
	;; [unrolled: 3-line block ×5, first 2 shown]
	ds_bpermute_b32 v4, v8, v3
	s_and_saveexec_b32 s1, s3
	s_cbranch_execz .LBB2_14
; %bb.13:
	s_waitcnt lgkmcnt(0)
	v_add_f32_e32 v3, v3, v4
	v_div_scale_f32 v4, null, v9, v9, v3
	v_div_scale_f32 v7, vcc_lo, v3, v9, v3
	v_rcp_f32_e32 v5, v4
	v_fma_f32 v6, -v4, v5, 1.0
	v_fmac_f32_e32 v5, v6, v5
	v_mul_f32_e32 v6, v7, v5
	v_fma_f32 v8, -v4, v6, v7
	v_fmac_f32_e32 v6, v8, v5
	v_fma_f32 v4, -v4, v6, v7
	v_div_fmas_f32 v4, v4, v5, v6
	v_div_fixup_f32 v3, v4, v9, v3
	v_mov_b32_e32 v4, 0
	v_add_f32_e32 v3, s10, v3
	ds_write_b32 v4, v3 offset:64
.LBB2_14:
	s_or_b32 exec_lo, exec_lo, s1
	s_waitcnt lgkmcnt(0)
	s_barrier
	buffer_gl0_inv
	s_and_saveexec_b32 s1, s0
	s_cbranch_execz .LBB2_16
; %bb.15:
	s_load_dwordx4 s[0:3], s[4:5], 0x18
	v_mov_b32_e32 v7, 0
	s_waitcnt lgkmcnt(0)
	s_clause 0x1
	global_load_dword v5, v1, s[0:1]
	global_load_dword v6, v1, s[2:3]
	ds_read_b64 v[3:4], v7 offset:64
	s_waitcnt lgkmcnt(0)
	v_mul_f32_e32 v1, 0x4b800000, v3
	v_cmp_gt_f32_e32 vcc_lo, 0x800000, v3
	v_sub_f32_e32 v2, v2, v4
	v_cndmask_b32_e32 v1, v3, v1, vcc_lo
	v_rsq_f32_e32 v3, v1
	v_mad_u64_u32 v[0:1], null, s11, s6, v[0:1]
	v_mov_b32_e32 v1, v7
	v_lshlrev_b64 v[0:1], 2, v[0:1]
	v_mul_f32_e32 v8, 0x45800000, v3
	v_cndmask_b32_e32 v3, v3, v8, vcc_lo
	v_add_co_u32 v0, vcc_lo, s8, v0
	v_add_co_ci_u32_e64 v1, null, s9, v1, vcc_lo
	v_mul_f32_e32 v2, v2, v3
	s_waitcnt vmcnt(0)
	v_fmac_f32_e32 v6, v5, v2
	global_store_dword v[0:1], v6, off
.LBB2_16:
	s_endpgm
	.section	.rodata,"a",@progbits
	.p2align	6, 0x0
	.amdhsa_kernel _Z28addBiasResidualPostLayerNormIfLi1ELi64EEvPT_PKS0_S3_S3_S3_fi
		.amdhsa_group_segment_fixed_size 72
		.amdhsa_private_segment_fixed_size 0
		.amdhsa_kernarg_size 304
		.amdhsa_user_sgpr_count 6
		.amdhsa_user_sgpr_private_segment_buffer 1
		.amdhsa_user_sgpr_dispatch_ptr 0
		.amdhsa_user_sgpr_queue_ptr 0
		.amdhsa_user_sgpr_kernarg_segment_ptr 1
		.amdhsa_user_sgpr_dispatch_id 0
		.amdhsa_user_sgpr_flat_scratch_init 0
		.amdhsa_user_sgpr_private_segment_size 0
		.amdhsa_wavefront_size32 1
		.amdhsa_uses_dynamic_stack 0
		.amdhsa_system_sgpr_private_segment_wavefront_offset 0
		.amdhsa_system_sgpr_workgroup_id_x 1
		.amdhsa_system_sgpr_workgroup_id_y 0
		.amdhsa_system_sgpr_workgroup_id_z 0
		.amdhsa_system_sgpr_workgroup_info 0
		.amdhsa_system_vgpr_workitem_id 0
		.amdhsa_next_free_vgpr 18
		.amdhsa_next_free_sgpr 16
		.amdhsa_reserve_vcc 1
		.amdhsa_reserve_flat_scratch 0
		.amdhsa_float_round_mode_32 0
		.amdhsa_float_round_mode_16_64 0
		.amdhsa_float_denorm_mode_32 3
		.amdhsa_float_denorm_mode_16_64 3
		.amdhsa_dx10_clamp 1
		.amdhsa_ieee_mode 1
		.amdhsa_fp16_overflow 0
		.amdhsa_workgroup_processor_mode 1
		.amdhsa_memory_ordered 1
		.amdhsa_forward_progress 1
		.amdhsa_shared_vgpr_count 0
		.amdhsa_exception_fp_ieee_invalid_op 0
		.amdhsa_exception_fp_denorm_src 0
		.amdhsa_exception_fp_ieee_div_zero 0
		.amdhsa_exception_fp_ieee_overflow 0
		.amdhsa_exception_fp_ieee_underflow 0
		.amdhsa_exception_fp_ieee_inexact 0
		.amdhsa_exception_int_div_zero 0
	.end_amdhsa_kernel
	.section	.text._Z28addBiasResidualPostLayerNormIfLi1ELi64EEvPT_PKS0_S3_S3_S3_fi,"axG",@progbits,_Z28addBiasResidualPostLayerNormIfLi1ELi64EEvPT_PKS0_S3_S3_S3_fi,comdat
.Lfunc_end2:
	.size	_Z28addBiasResidualPostLayerNormIfLi1ELi64EEvPT_PKS0_S3_S3_S3_fi, .Lfunc_end2-_Z28addBiasResidualPostLayerNormIfLi1ELi64EEvPT_PKS0_S3_S3_S3_fi
                                        ; -- End function
	.set _Z28addBiasResidualPostLayerNormIfLi1ELi64EEvPT_PKS0_S3_S3_S3_fi.num_vgpr, 18
	.set _Z28addBiasResidualPostLayerNormIfLi1ELi64EEvPT_PKS0_S3_S3_S3_fi.num_agpr, 0
	.set _Z28addBiasResidualPostLayerNormIfLi1ELi64EEvPT_PKS0_S3_S3_S3_fi.numbered_sgpr, 16
	.set _Z28addBiasResidualPostLayerNormIfLi1ELi64EEvPT_PKS0_S3_S3_S3_fi.num_named_barrier, 0
	.set _Z28addBiasResidualPostLayerNormIfLi1ELi64EEvPT_PKS0_S3_S3_S3_fi.private_seg_size, 0
	.set _Z28addBiasResidualPostLayerNormIfLi1ELi64EEvPT_PKS0_S3_S3_S3_fi.uses_vcc, 1
	.set _Z28addBiasResidualPostLayerNormIfLi1ELi64EEvPT_PKS0_S3_S3_S3_fi.uses_flat_scratch, 0
	.set _Z28addBiasResidualPostLayerNormIfLi1ELi64EEvPT_PKS0_S3_S3_S3_fi.has_dyn_sized_stack, 0
	.set _Z28addBiasResidualPostLayerNormIfLi1ELi64EEvPT_PKS0_S3_S3_S3_fi.has_recursion, 0
	.set _Z28addBiasResidualPostLayerNormIfLi1ELi64EEvPT_PKS0_S3_S3_S3_fi.has_indirect_call, 0
	.section	.AMDGPU.csdata,"",@progbits
; Kernel info:
; codeLenInByte = 1240
; TotalNumSgprs: 18
; NumVgprs: 18
; ScratchSize: 0
; MemoryBound: 0
; FloatMode: 240
; IeeeMode: 1
; LDSByteSize: 72 bytes/workgroup (compile time only)
; SGPRBlocks: 0
; VGPRBlocks: 2
; NumSGPRsForWavesPerEU: 18
; NumVGPRsForWavesPerEU: 18
; Occupancy: 16
; WaveLimiterHint : 0
; COMPUTE_PGM_RSRC2:SCRATCH_EN: 0
; COMPUTE_PGM_RSRC2:USER_SGPR: 6
; COMPUTE_PGM_RSRC2:TRAP_HANDLER: 0
; COMPUTE_PGM_RSRC2:TGID_X_EN: 1
; COMPUTE_PGM_RSRC2:TGID_Y_EN: 0
; COMPUTE_PGM_RSRC2:TGID_Z_EN: 0
; COMPUTE_PGM_RSRC2:TIDIG_COMP_CNT: 0
	.section	.text._Z28addBiasResidualPostLayerNormIfLi2ELi64EEvPT_PKS0_S3_S3_S3_fi,"axG",@progbits,_Z28addBiasResidualPostLayerNormIfLi2ELi64EEvPT_PKS0_S3_S3_S3_fi,comdat
	.protected	_Z28addBiasResidualPostLayerNormIfLi2ELi64EEvPT_PKS0_S3_S3_S3_fi ; -- Begin function _Z28addBiasResidualPostLayerNormIfLi2ELi64EEvPT_PKS0_S3_S3_S3_fi
	.globl	_Z28addBiasResidualPostLayerNormIfLi2ELi64EEvPT_PKS0_S3_S3_S3_fi
	.p2align	8
	.type	_Z28addBiasResidualPostLayerNormIfLi2ELi64EEvPT_PKS0_S3_S3_S3_fi,@function
_Z28addBiasResidualPostLayerNormIfLi2ELi64EEvPT_PKS0_S3_S3_S3_fi: ; @_Z28addBiasResidualPostLayerNormIfLi2ELi64EEvPT_PKS0_S3_S3_S3_fi
; %bb.0:
	s_clause 0x1
	s_load_dwordx2 s[14:15], s[4:5], 0x28
	s_load_dwordx2 s[12:13], s[4:5], 0x0
	v_mov_b32_e32 v6, 0
	v_mov_b32_e32 v3, 0
	v_lshlrev_b32_e32 v7, 2, v0
	v_mov_b32_e32 v2, v6
	s_waitcnt lgkmcnt(0)
	s_mul_i32 s6, s15, s6
	v_cmp_gt_i32_e64 s0, s15, v0
	v_add_nc_u32_e32 v1, s6, v0
	s_and_saveexec_b32 s1, s0
	s_cbranch_execz .LBB3_4
; %bb.1:
	s_clause 0x1
	s_load_dwordx4 s[8:11], s[4:5], 0x8
	s_load_dword s2, s[4:5], 0x3c
	v_mov_b32_e32 v2, 0
	v_lshlrev_b64 v[3:4], 2, v[1:2]
	v_add_co_u32 v5, vcc_lo, s12, v3
	v_add_co_ci_u32_e64 v6, null, s13, v4, vcc_lo
	s_waitcnt lgkmcnt(0)
	v_add_co_u32 v3, vcc_lo, s8, v3
	v_add_co_ci_u32_e64 v4, null, s9, v4, vcc_lo
	s_and_b32 s3, s2, 0xffff
	s_mov_b32 s2, exec_lo
	global_load_dword v5, v[5:6], off
	global_load_dword v3, v[3:4], off
	global_load_dword v4, v7, s[10:11]
	s_waitcnt vmcnt(1)
	v_add_f32_e32 v3, v5, v3
	s_waitcnt vmcnt(0)
	v_add_f32_e32 v3, v3, v4
	v_add_nc_u32_e32 v4, s3, v0
	v_add_f32_e32 v6, 0, v3
	v_cmpx_gt_u32_e64 s15, v4
	s_cbranch_execz .LBB3_3
; %bb.2:
	v_add_nc_u32_e32 v4, s6, v4
	v_mov_b32_e32 v5, 0
	v_add_co_u32 v2, s7, s10, v7
	v_add_co_ci_u32_e64 v10, null, s11, 0, s7
	v_lshlrev_b64 v[4:5], 2, v[4:5]
	s_lshl_b32 s3, s3, 2
	v_add_co_u32 v8, vcc_lo, s12, v4
	v_add_co_ci_u32_e64 v9, null, s13, v5, vcc_lo
	v_add_co_u32 v4, vcc_lo, s8, v4
	v_add_co_ci_u32_e64 v5, null, s9, v5, vcc_lo
	global_load_dword v8, v[8:9], off
	global_load_dword v9, v[4:5], off
	v_add_co_u32 v4, vcc_lo, v2, s3
	v_add_co_ci_u32_e64 v5, null, 0, v10, vcc_lo
	global_load_dword v2, v[4:5], off
	s_waitcnt vmcnt(1)
	v_add_f32_e32 v4, v8, v9
	s_waitcnt vmcnt(0)
	v_add_f32_e32 v2, v4, v2
	v_add_f32_e32 v6, v6, v2
.LBB3_3:
	s_or_b32 exec_lo, exec_lo, s2
.LBB3_4:
	s_or_b32 exec_lo, exec_lo, s1
	v_mbcnt_lo_u32_b32 v10, -1, 0
	v_or_b32_e32 v4, 32, v10
	v_xor_b32_e32 v5, 16, v10
	v_xor_b32_e32 v13, 1, v10
	v_cmp_gt_i32_e32 vcc_lo, 64, v4
	v_cndmask_b32_e32 v4, v10, v4, vcc_lo
	v_cmp_gt_i32_e32 vcc_lo, 64, v5
	v_lshlrev_b32_e32 v4, 2, v4
	v_cndmask_b32_e32 v5, v10, v5, vcc_lo
	ds_bpermute_b32 v8, v4, v6
	v_lshlrev_b32_e32 v5, 2, v5
	s_waitcnt lgkmcnt(0)
	v_add_f32_e32 v8, v6, v8
	v_xor_b32_e32 v6, 8, v10
	ds_bpermute_b32 v9, v5, v8
	v_cmp_gt_i32_e32 vcc_lo, 64, v6
	v_cndmask_b32_e32 v6, v10, v6, vcc_lo
	v_lshlrev_b32_e32 v6, 2, v6
	s_waitcnt lgkmcnt(0)
	v_add_f32_e32 v9, v8, v9
	v_xor_b32_e32 v8, 4, v10
	ds_bpermute_b32 v11, v6, v9
	v_cmp_gt_i32_e32 vcc_lo, 64, v8
	v_cndmask_b32_e32 v8, v10, v8, vcc_lo
	;; [unrolled: 7-line block ×3, first 2 shown]
	v_cmp_gt_i32_e32 vcc_lo, 64, v13
	v_lshlrev_b32_e32 v9, 2, v9
	v_cndmask_b32_e32 v10, v10, v13, vcc_lo
	v_lshlrev_b32_e32 v10, 2, v10
	s_waitcnt lgkmcnt(0)
	v_add_f32_e32 v11, v11, v12
	ds_bpermute_b32 v12, v9, v11
	s_waitcnt lgkmcnt(0)
	v_add_f32_e32 v13, v11, v12
	v_and_b32_e32 v11, 63, v0
	v_lshrrev_b32_e32 v12, 4, v0
	ds_bpermute_b32 v14, v10, v13
	v_cmp_eq_u32_e64 s1, 0, v11
	s_and_saveexec_b32 s2, s1
	s_cbranch_execz .LBB3_6
; %bb.5:
	s_waitcnt lgkmcnt(0)
	v_add_f32_e32 v13, v13, v14
	ds_write_b32 v12, v13
.LBB3_6:
	s_or_b32 exec_lo, exec_lo, s2
	s_waitcnt lgkmcnt(0)
	s_barrier
	buffer_gl0_inv
	s_load_dword s7, s[4:5], 0x3c
	v_mov_b32_e32 v14, 0
	v_lshlrev_b32_e32 v13, 2, v11
	s_waitcnt lgkmcnt(0)
	s_bfe_u32 s2, s7, 0xa0006
	v_cmp_gt_u32_e64 s2, s2, v0
	s_and_saveexec_b32 s3, s2
; %bb.7:
	ds_read_b32 v14, v13
; %bb.8:
	s_or_b32 exec_lo, exec_lo, s3
	s_waitcnt lgkmcnt(0)
	ds_bpermute_b32 v11, v4, v14
	v_cmp_eq_u32_e64 s3, 0, v0
	s_waitcnt lgkmcnt(0)
	v_add_f32_e32 v11, v14, v11
	ds_bpermute_b32 v14, v5, v11
	s_waitcnt lgkmcnt(0)
	v_add_f32_e32 v11, v11, v14
	ds_bpermute_b32 v14, v6, v11
	;; [unrolled: 3-line block ×4, first 2 shown]
	s_waitcnt lgkmcnt(0)
	v_add_f32_e32 v14, v11, v14
	v_cvt_f32_i32_e32 v11, s15
	ds_bpermute_b32 v15, v10, v14
	s_and_saveexec_b32 s8, s3
	s_cbranch_execz .LBB3_10
; %bb.9:
	s_waitcnt lgkmcnt(0)
	v_add_f32_e32 v14, v14, v15
	v_div_scale_f32 v15, null, v11, v11, v14
	v_div_scale_f32 v18, vcc_lo, v14, v11, v14
	v_rcp_f32_e32 v16, v15
	v_fma_f32 v17, -v15, v16, 1.0
	v_fmac_f32_e32 v16, v17, v16
	v_mul_f32_e32 v17, v18, v16
	v_fma_f32 v19, -v15, v17, v18
	v_fmac_f32_e32 v17, v19, v16
	v_fma_f32 v15, -v15, v17, v18
	v_div_fmas_f32 v15, v15, v16, v17
	v_div_fixup_f32 v14, v15, v11, v14
	v_mov_b32_e32 v15, 0
	ds_write_b32 v15, v14 offset:68
.LBB3_10:
	s_or_b32 exec_lo, exec_lo, s8
	s_and_b32 s7, 0xffff, s7
	v_mov_b32_e32 v14, 0
	v_add_nc_u32_e32 v0, s7, v0
	s_waitcnt lgkmcnt(0)
	s_barrier
	buffer_gl0_inv
	s_and_saveexec_b32 s8, s0
	s_cbranch_execz .LBB3_12
; %bb.11:
	v_mov_b32_e32 v14, 0
	v_cmp_gt_u32_e32 vcc_lo, s15, v0
	ds_read_b32 v14, v14 offset:68
	s_waitcnt lgkmcnt(0)
	v_sub_f32_e32 v15, v3, v14
	v_sub_f32_e32 v14, v2, v14
	v_mul_f32_e32 v15, v15, v15
	v_fma_f32 v14, v14, v14, v15
	v_cndmask_b32_e32 v14, v15, v14, vcc_lo
.LBB3_12:
	s_or_b32 exec_lo, exec_lo, s8
	ds_bpermute_b32 v15, v4, v14
	s_waitcnt lgkmcnt(0)
	v_add_f32_e32 v14, v14, v15
	ds_bpermute_b32 v15, v5, v14
	s_waitcnt lgkmcnt(0)
	v_add_f32_e32 v14, v14, v15
	;; [unrolled: 3-line block ×5, first 2 shown]
	ds_bpermute_b32 v15, v10, v14
	s_and_saveexec_b32 s8, s1
	s_cbranch_execz .LBB3_14
; %bb.13:
	s_waitcnt lgkmcnt(0)
	v_add_f32_e32 v14, v14, v15
	ds_write_b32 v12, v14
.LBB3_14:
	s_or_b32 exec_lo, exec_lo, s8
	v_mov_b32_e32 v12, 0
	s_waitcnt lgkmcnt(0)
	s_barrier
	buffer_gl0_inv
	s_and_saveexec_b32 s1, s2
; %bb.15:
	ds_read_b32 v12, v13
; %bb.16:
	s_or_b32 exec_lo, exec_lo, s1
	s_waitcnt lgkmcnt(0)
	ds_bpermute_b32 v4, v4, v12
	s_waitcnt lgkmcnt(0)
	v_add_f32_e32 v4, v12, v4
	ds_bpermute_b32 v5, v5, v4
	s_waitcnt lgkmcnt(0)
	v_add_f32_e32 v4, v4, v5
	;; [unrolled: 3-line block ×5, first 2 shown]
	ds_bpermute_b32 v5, v10, v4
	s_and_saveexec_b32 s1, s3
	s_cbranch_execz .LBB3_18
; %bb.17:
	s_waitcnt lgkmcnt(0)
	v_add_f32_e32 v4, v4, v5
	v_div_scale_f32 v5, null, v11, v11, v4
	v_div_scale_f32 v9, vcc_lo, v4, v11, v4
	v_rcp_f32_e32 v6, v5
	v_fma_f32 v8, -v5, v6, 1.0
	v_fmac_f32_e32 v6, v8, v6
	v_mul_f32_e32 v8, v9, v6
	v_fma_f32 v10, -v5, v8, v9
	v_fmac_f32_e32 v8, v10, v6
	v_fma_f32 v5, -v5, v8, v9
	v_div_fmas_f32 v5, v5, v6, v8
	v_div_fixup_f32 v4, v5, v11, v4
	v_mov_b32_e32 v5, 0
	v_add_f32_e32 v4, s14, v4
	ds_write_b32 v5, v4 offset:64
.LBB3_18:
	s_or_b32 exec_lo, exec_lo, s1
	s_waitcnt lgkmcnt(0)
	s_barrier
	buffer_gl0_inv
	s_and_saveexec_b32 s1, s0
	s_cbranch_execz .LBB3_21
; %bb.19:
	s_load_dwordx4 s[0:3], s[4:5], 0x18
	v_mov_b32_e32 v4, 0
	s_waitcnt lgkmcnt(0)
	s_clause 0x1
	global_load_dword v10, v7, s[0:1]
	global_load_dword v11, v7, s[2:3]
	ds_read_b64 v[5:6], v4 offset:64
	s_waitcnt lgkmcnt(0)
	v_mul_f32_e32 v8, 0x4b800000, v5
	v_cmp_gt_f32_e32 vcc_lo, 0x800000, v5
	v_sub_f32_e32 v9, v3, v6
	v_mov_b32_e32 v3, v1
	v_cndmask_b32_e32 v5, v5, v8, vcc_lo
	v_rsq_f32_e32 v5, v5
	v_mul_f32_e32 v8, 0x45800000, v5
	v_cndmask_b32_e32 v5, v5, v8, vcc_lo
	v_mul_f32_e32 v1, v9, v5
	v_lshlrev_b64 v[8:9], 2, v[3:4]
	v_add_co_u32 v8, vcc_lo, s12, v8
	v_add_co_ci_u32_e64 v9, null, s13, v9, vcc_lo
	v_cmp_gt_u32_e32 vcc_lo, s15, v0
	s_waitcnt vmcnt(0)
	v_fmac_f32_e32 v11, v10, v1
	global_store_dword v[8:9], v11, off
	s_and_b32 exec_lo, exec_lo, vcc_lo
	s_cbranch_execz .LBB3_21
; %bb.20:
	v_add_co_u32 v1, s0, s0, v7
	v_add_co_ci_u32_e64 v3, null, s1, 0, s0
	v_add_co_u32 v9, s0, s2, v7
	v_add_co_ci_u32_e64 v10, null, s3, 0, s0
	s_lshl_b32 s0, s7, 2
	v_add_co_u32 v7, vcc_lo, v1, s0
	v_add_co_ci_u32_e64 v8, null, 0, v3, vcc_lo
	v_add_co_u32 v9, vcc_lo, v9, s0
	v_add_co_ci_u32_e64 v10, null, 0, v10, vcc_lo
	global_load_dword v7, v[7:8], off
	global_load_dword v8, v[9:10], off
	v_sub_f32_e32 v1, v2, v6
	v_add_nc_u32_e32 v3, s6, v0
	v_mul_f32_e32 v2, v1, v5
	v_lshlrev_b64 v[0:1], 2, v[3:4]
	v_add_co_u32 v0, vcc_lo, s12, v0
	v_add_co_ci_u32_e64 v1, null, s13, v1, vcc_lo
	s_waitcnt vmcnt(0)
	v_fmac_f32_e32 v8, v7, v2
	global_store_dword v[0:1], v8, off
.LBB3_21:
	s_endpgm
	.section	.rodata,"a",@progbits
	.p2align	6, 0x0
	.amdhsa_kernel _Z28addBiasResidualPostLayerNormIfLi2ELi64EEvPT_PKS0_S3_S3_S3_fi
		.amdhsa_group_segment_fixed_size 72
		.amdhsa_private_segment_fixed_size 0
		.amdhsa_kernarg_size 304
		.amdhsa_user_sgpr_count 6
		.amdhsa_user_sgpr_private_segment_buffer 1
		.amdhsa_user_sgpr_dispatch_ptr 0
		.amdhsa_user_sgpr_queue_ptr 0
		.amdhsa_user_sgpr_kernarg_segment_ptr 1
		.amdhsa_user_sgpr_dispatch_id 0
		.amdhsa_user_sgpr_flat_scratch_init 0
		.amdhsa_user_sgpr_private_segment_size 0
		.amdhsa_wavefront_size32 1
		.amdhsa_uses_dynamic_stack 0
		.amdhsa_system_sgpr_private_segment_wavefront_offset 0
		.amdhsa_system_sgpr_workgroup_id_x 1
		.amdhsa_system_sgpr_workgroup_id_y 0
		.amdhsa_system_sgpr_workgroup_id_z 0
		.amdhsa_system_sgpr_workgroup_info 0
		.amdhsa_system_vgpr_workitem_id 0
		.amdhsa_next_free_vgpr 20
		.amdhsa_next_free_sgpr 16
		.amdhsa_reserve_vcc 1
		.amdhsa_reserve_flat_scratch 0
		.amdhsa_float_round_mode_32 0
		.amdhsa_float_round_mode_16_64 0
		.amdhsa_float_denorm_mode_32 3
		.amdhsa_float_denorm_mode_16_64 3
		.amdhsa_dx10_clamp 1
		.amdhsa_ieee_mode 1
		.amdhsa_fp16_overflow 0
		.amdhsa_workgroup_processor_mode 1
		.amdhsa_memory_ordered 1
		.amdhsa_forward_progress 1
		.amdhsa_shared_vgpr_count 0
		.amdhsa_exception_fp_ieee_invalid_op 0
		.amdhsa_exception_fp_denorm_src 0
		.amdhsa_exception_fp_ieee_div_zero 0
		.amdhsa_exception_fp_ieee_overflow 0
		.amdhsa_exception_fp_ieee_underflow 0
		.amdhsa_exception_fp_ieee_inexact 0
		.amdhsa_exception_int_div_zero 0
	.end_amdhsa_kernel
	.section	.text._Z28addBiasResidualPostLayerNormIfLi2ELi64EEvPT_PKS0_S3_S3_S3_fi,"axG",@progbits,_Z28addBiasResidualPostLayerNormIfLi2ELi64EEvPT_PKS0_S3_S3_S3_fi,comdat
.Lfunc_end3:
	.size	_Z28addBiasResidualPostLayerNormIfLi2ELi64EEvPT_PKS0_S3_S3_S3_fi, .Lfunc_end3-_Z28addBiasResidualPostLayerNormIfLi2ELi64EEvPT_PKS0_S3_S3_S3_fi
                                        ; -- End function
	.set _Z28addBiasResidualPostLayerNormIfLi2ELi64EEvPT_PKS0_S3_S3_S3_fi.num_vgpr, 20
	.set _Z28addBiasResidualPostLayerNormIfLi2ELi64EEvPT_PKS0_S3_S3_S3_fi.num_agpr, 0
	.set _Z28addBiasResidualPostLayerNormIfLi2ELi64EEvPT_PKS0_S3_S3_S3_fi.numbered_sgpr, 16
	.set _Z28addBiasResidualPostLayerNormIfLi2ELi64EEvPT_PKS0_S3_S3_S3_fi.num_named_barrier, 0
	.set _Z28addBiasResidualPostLayerNormIfLi2ELi64EEvPT_PKS0_S3_S3_S3_fi.private_seg_size, 0
	.set _Z28addBiasResidualPostLayerNormIfLi2ELi64EEvPT_PKS0_S3_S3_S3_fi.uses_vcc, 1
	.set _Z28addBiasResidualPostLayerNormIfLi2ELi64EEvPT_PKS0_S3_S3_S3_fi.uses_flat_scratch, 0
	.set _Z28addBiasResidualPostLayerNormIfLi2ELi64EEvPT_PKS0_S3_S3_S3_fi.has_dyn_sized_stack, 0
	.set _Z28addBiasResidualPostLayerNormIfLi2ELi64EEvPT_PKS0_S3_S3_S3_fi.has_recursion, 0
	.set _Z28addBiasResidualPostLayerNormIfLi2ELi64EEvPT_PKS0_S3_S3_S3_fi.has_indirect_call, 0
	.section	.AMDGPU.csdata,"",@progbits
; Kernel info:
; codeLenInByte = 1604
; TotalNumSgprs: 18
; NumVgprs: 20
; ScratchSize: 0
; MemoryBound: 0
; FloatMode: 240
; IeeeMode: 1
; LDSByteSize: 72 bytes/workgroup (compile time only)
; SGPRBlocks: 0
; VGPRBlocks: 2
; NumSGPRsForWavesPerEU: 18
; NumVGPRsForWavesPerEU: 20
; Occupancy: 16
; WaveLimiterHint : 0
; COMPUTE_PGM_RSRC2:SCRATCH_EN: 0
; COMPUTE_PGM_RSRC2:USER_SGPR: 6
; COMPUTE_PGM_RSRC2:TRAP_HANDLER: 0
; COMPUTE_PGM_RSRC2:TGID_X_EN: 1
; COMPUTE_PGM_RSRC2:TGID_Y_EN: 0
; COMPUTE_PGM_RSRC2:TGID_Z_EN: 0
; COMPUTE_PGM_RSRC2:TIDIG_COMP_CNT: 0
	.section	.text._Z35generalAddBiasResidualPostLayerNormIfLi64EEvPT_PKS0_S3_S3_S3_fi,"axG",@progbits,_Z35generalAddBiasResidualPostLayerNormIfLi64EEvPT_PKS0_S3_S3_S3_fi,comdat
	.protected	_Z35generalAddBiasResidualPostLayerNormIfLi64EEvPT_PKS0_S3_S3_S3_fi ; -- Begin function _Z35generalAddBiasResidualPostLayerNormIfLi64EEvPT_PKS0_S3_S3_S3_fi
	.globl	_Z35generalAddBiasResidualPostLayerNormIfLi64EEvPT_PKS0_S3_S3_S3_fi
	.p2align	8
	.type	_Z35generalAddBiasResidualPostLayerNormIfLi64EEvPT_PKS0_S3_S3_S3_fi,@function
_Z35generalAddBiasResidualPostLayerNormIfLi64EEvPT_PKS0_S3_S3_S3_fi: ; @_Z35generalAddBiasResidualPostLayerNormIfLi64EEvPT_PKS0_S3_S3_S3_fi
; %bb.0:
	s_clause 0x2
	s_load_dwordx2 s[18:19], s[4:5], 0x28
	s_load_dwordx2 s[16:17], s[4:5], 0x0
	s_load_dwordx4 s[8:11], s[4:5], 0x18
	v_mov_b32_e32 v3, 0
	s_waitcnt lgkmcnt(0)
	s_lshr_b32 s0, s19, 31
	s_mul_i32 s6, s19, s6
	s_add_i32 s0, s19, s0
	s_ashr_i32 s7, s0, 1
	v_cmp_gt_i32_e64 s0, s7, v0
	s_and_saveexec_b32 s2, s0
	s_cbranch_execz .LBB4_4
; %bb.1:
	s_clause 0x1
	s_load_dwordx4 s[12:15], s[4:5], 0x8
	s_load_dword s1, s[4:5], 0x3c
	v_lshlrev_b32_e32 v1, 3, v0
	v_mov_b32_e32 v3, 0
	v_mov_b32_e32 v4, v0
	s_lshr_b32 s3, s6, 1
	s_waitcnt lgkmcnt(0)
	v_add_co_u32 v1, s14, s14, v1
	v_add_co_ci_u32_e64 v2, null, s15, 0, s14
	s_and_b32 s15, s1, 0xffff
	v_add_co_u32 v1, vcc_lo, v1, 4
	v_add_co_ci_u32_e64 v2, null, 0, v2, vcc_lo
	s_mov_b32 s14, 0
	s_lshl_b32 s20, s15, 3
	s_inst_prefetch 0x1
	.p2align	6
.LBB4_2:                                ; =>This Inner Loop Header: Depth=1
	v_add_nc_u32_e32 v5, s3, v4
	v_add_nc_u32_e32 v4, s15, v4
	v_ashrrev_i32_e32 v6, 31, v5
	v_cmp_le_i32_e64 s1, s7, v4
	v_lshlrev_b64 v[5:6], 3, v[5:6]
	s_or_b32 s14, s1, s14
	v_add_co_u32 v7, vcc_lo, s16, v5
	v_add_co_ci_u32_e64 v8, null, s17, v6, vcc_lo
	v_add_co_u32 v5, vcc_lo, s12, v5
	v_add_co_ci_u32_e64 v6, null, s13, v6, vcc_lo
	global_load_dwordx2 v[9:10], v[7:8], off
	global_load_dwordx2 v[5:6], v[5:6], off
	global_load_dwordx2 v[11:12], v[1:2], off offset:-4
	v_add_co_u32 v1, vcc_lo, v1, s20
	v_add_co_ci_u32_e64 v2, null, 0, v2, vcc_lo
	s_waitcnt vmcnt(1)
	v_add_f32_e32 v5, v9, v5
	v_add_f32_e32 v6, v10, v6
	s_waitcnt vmcnt(0)
	v_add_f32_e32 v5, v5, v11
	v_add_f32_e32 v6, v6, v12
	;; [unrolled: 1-line block ×3, first 2 shown]
	global_store_dwordx2 v[7:8], v[5:6], off
	v_add_f32_e32 v3, v3, v6
	s_andn2_b32 exec_lo, exec_lo, s14
	s_cbranch_execnz .LBB4_2
; %bb.3:
	s_inst_prefetch 0x2
	s_or_b32 exec_lo, exec_lo, s14
.LBB4_4:
	s_or_b32 exec_lo, exec_lo, s2
	v_mbcnt_lo_u32_b32 v6, -1, 0
	v_or_b32_e32 v1, 32, v6
	v_xor_b32_e32 v2, 16, v6
	v_xor_b32_e32 v9, 1, v6
	v_cmp_gt_i32_e32 vcc_lo, 64, v1
	v_cndmask_b32_e32 v1, v6, v1, vcc_lo
	v_cmp_gt_i32_e32 vcc_lo, 64, v2
	v_lshlrev_b32_e32 v1, 2, v1
	v_cndmask_b32_e32 v2, v6, v2, vcc_lo
	ds_bpermute_b32 v4, v1, v3
	v_lshlrev_b32_e32 v2, 2, v2
	s_waitcnt lgkmcnt(0)
	v_add_f32_e32 v4, v3, v4
	v_xor_b32_e32 v3, 8, v6
	ds_bpermute_b32 v5, v2, v4
	v_cmp_gt_i32_e32 vcc_lo, 64, v3
	v_cndmask_b32_e32 v3, v6, v3, vcc_lo
	v_lshlrev_b32_e32 v3, 2, v3
	s_waitcnt lgkmcnt(0)
	v_add_f32_e32 v5, v4, v5
	v_xor_b32_e32 v4, 4, v6
	ds_bpermute_b32 v7, v3, v5
	v_cmp_gt_i32_e32 vcc_lo, 64, v4
	v_cndmask_b32_e32 v4, v6, v4, vcc_lo
	;; [unrolled: 7-line block ×3, first 2 shown]
	v_cmp_gt_i32_e32 vcc_lo, 64, v9
	v_lshlrev_b32_e32 v5, 2, v5
	v_cndmask_b32_e32 v6, v6, v9, vcc_lo
	v_lshlrev_b32_e32 v6, 2, v6
	s_waitcnt lgkmcnt(0)
	v_add_f32_e32 v7, v7, v8
	ds_bpermute_b32 v8, v5, v7
	s_waitcnt lgkmcnt(0)
	v_add_f32_e32 v9, v7, v8
	v_and_b32_e32 v7, 63, v0
	v_lshrrev_b32_e32 v8, 4, v0
	ds_bpermute_b32 v10, v6, v9
	v_cmp_eq_u32_e64 s1, 0, v7
	s_and_saveexec_b32 s2, s1
	s_cbranch_execz .LBB4_6
; %bb.5:
	s_waitcnt lgkmcnt(0)
	v_add_f32_e32 v9, v9, v10
	ds_write_b32 v8, v9
.LBB4_6:
	s_or_b32 exec_lo, exec_lo, s2
	s_waitcnt lgkmcnt(0)
	s_waitcnt_vscnt null, 0x0
	s_barrier
	buffer_gl0_inv
	s_load_dword s4, s[4:5], 0x3c
	v_mov_b32_e32 v10, 0
	v_lshlrev_b32_e32 v9, 2, v7
	s_waitcnt lgkmcnt(0)
	s_bfe_u32 s2, s4, 0xa0006
	v_cmp_gt_u32_e64 s2, s2, v0
	s_and_saveexec_b32 s3, s2
; %bb.7:
	ds_read_b32 v10, v9
; %bb.8:
	s_or_b32 exec_lo, exec_lo, s3
	s_waitcnt lgkmcnt(0)
	ds_bpermute_b32 v7, v1, v10
	v_cmp_eq_u32_e64 s3, 0, v0
	s_waitcnt lgkmcnt(0)
	v_add_f32_e32 v7, v10, v7
	ds_bpermute_b32 v10, v2, v7
	s_waitcnt lgkmcnt(0)
	v_add_f32_e32 v7, v7, v10
	ds_bpermute_b32 v10, v3, v7
	;; [unrolled: 3-line block ×4, first 2 shown]
	s_waitcnt lgkmcnt(0)
	v_add_f32_e32 v10, v7, v10
	v_cvt_f32_i32_e32 v7, s19
	ds_bpermute_b32 v11, v6, v10
	s_and_saveexec_b32 s5, s3
	s_cbranch_execz .LBB4_10
; %bb.9:
	s_waitcnt lgkmcnt(0)
	v_add_f32_e32 v10, v10, v11
	v_div_scale_f32 v11, null, v7, v7, v10
	v_div_scale_f32 v14, vcc_lo, v10, v7, v10
	v_rcp_f32_e32 v12, v11
	v_fma_f32 v13, -v11, v12, 1.0
	v_fmac_f32_e32 v12, v13, v12
	v_mul_f32_e32 v13, v14, v12
	v_fma_f32 v15, -v11, v13, v14
	v_fmac_f32_e32 v13, v15, v12
	v_fma_f32 v11, -v11, v13, v14
	v_div_fmas_f32 v11, v11, v12, v13
	v_div_fixup_f32 v10, v11, v7, v10
	v_mov_b32_e32 v11, 0
	ds_write_b32 v11, v10 offset:68
.LBB4_10:
	s_or_b32 exec_lo, exec_lo, s5
	v_mov_b32_e32 v10, 0
	s_and_b32 s4, 0xffff, s4
	s_waitcnt lgkmcnt(0)
	s_barrier
	buffer_gl0_inv
	s_and_saveexec_b32 s5, s0
	s_cbranch_execz .LBB4_14
; %bb.11:
	v_mov_b32_e32 v10, 0
	v_mov_b32_e32 v12, v0
	s_lshr_b32 s13, s6, 1
	s_mov_b32 s12, 0
	ds_read_b32 v11, v10 offset:68
	.p2align	6
.LBB4_12:                               ; =>This Inner Loop Header: Depth=1
	v_add_nc_u32_e32 v13, s13, v12
	v_add_nc_u32_e32 v12, s4, v12
	v_ashrrev_i32_e32 v14, 31, v13
	v_lshlrev_b64 v[13:14], 3, v[13:14]
	v_add_co_u32 v13, vcc_lo, s16, v13
	v_add_co_ci_u32_e64 v14, null, s17, v14, vcc_lo
	v_cmp_le_i32_e32 vcc_lo, s7, v12
	global_load_dwordx2 v[13:14], v[13:14], off
	s_or_b32 s12, vcc_lo, s12
	s_waitcnt vmcnt(0) lgkmcnt(0)
	v_sub_f32_e32 v13, v13, v11
	v_sub_f32_e32 v14, v14, v11
	v_fmac_f32_e32 v10, v13, v13
	v_fmac_f32_e32 v10, v14, v14
	s_andn2_b32 exec_lo, exec_lo, s12
	s_cbranch_execnz .LBB4_12
; %bb.13:
	s_or_b32 exec_lo, exec_lo, s12
.LBB4_14:
	s_or_b32 exec_lo, exec_lo, s5
	ds_bpermute_b32 v11, v1, v10
	s_waitcnt lgkmcnt(0)
	v_add_f32_e32 v10, v10, v11
	ds_bpermute_b32 v11, v2, v10
	s_waitcnt lgkmcnt(0)
	v_add_f32_e32 v10, v10, v11
	ds_bpermute_b32 v11, v3, v10
	s_waitcnt lgkmcnt(0)
	v_add_f32_e32 v10, v10, v11
	ds_bpermute_b32 v11, v4, v10
	s_waitcnt lgkmcnt(0)
	v_add_f32_e32 v10, v10, v11
	ds_bpermute_b32 v11, v5, v10
	s_waitcnt lgkmcnt(0)
	v_add_f32_e32 v10, v10, v11
	ds_bpermute_b32 v11, v6, v10
	s_and_saveexec_b32 s5, s1
	s_cbranch_execz .LBB4_16
; %bb.15:
	s_waitcnt lgkmcnt(0)
	v_add_f32_e32 v10, v10, v11
	ds_write_b32 v8, v10
.LBB4_16:
	s_or_b32 exec_lo, exec_lo, s5
	v_mov_b32_e32 v8, 0
	s_waitcnt lgkmcnt(0)
	s_barrier
	buffer_gl0_inv
	s_and_saveexec_b32 s1, s2
; %bb.17:
	ds_read_b32 v8, v9
; %bb.18:
	s_or_b32 exec_lo, exec_lo, s1
	s_waitcnt lgkmcnt(0)
	ds_bpermute_b32 v1, v1, v8
	s_waitcnt lgkmcnt(0)
	v_add_f32_e32 v1, v8, v1
	ds_bpermute_b32 v2, v2, v1
	s_waitcnt lgkmcnt(0)
	v_add_f32_e32 v1, v1, v2
	;; [unrolled: 3-line block ×5, first 2 shown]
	ds_bpermute_b32 v2, v6, v1
	s_and_saveexec_b32 s1, s3
	s_cbranch_execz .LBB4_20
; %bb.19:
	s_waitcnt lgkmcnt(0)
	v_add_f32_e32 v1, v1, v2
	v_div_scale_f32 v2, null, v7, v7, v1
	v_div_scale_f32 v5, vcc_lo, v1, v7, v1
	v_rcp_f32_e32 v3, v2
	v_fma_f32 v4, -v2, v3, 1.0
	v_fmac_f32_e32 v3, v4, v3
	v_mul_f32_e32 v4, v5, v3
	v_fma_f32 v6, -v2, v4, v5
	v_fmac_f32_e32 v4, v6, v3
	v_fma_f32 v2, -v2, v4, v5
	v_div_fmas_f32 v2, v2, v3, v4
	v_div_fixup_f32 v1, v2, v7, v1
	v_add_f32_e32 v1, s18, v1
	v_mul_f32_e32 v2, 0x4b800000, v1
	v_cmp_gt_f32_e32 vcc_lo, 0x800000, v1
	v_cndmask_b32_e32 v1, v1, v2, vcc_lo
	v_rsq_f32_e32 v1, v1
	v_mul_f32_e32 v2, 0x45800000, v1
	v_cndmask_b32_e32 v1, v1, v2, vcc_lo
	v_mov_b32_e32 v2, 0
	ds_write_b32 v2, v1 offset:64
.LBB4_20:
	s_or_b32 exec_lo, exec_lo, s1
	s_waitcnt lgkmcnt(0)
	s_barrier
	buffer_gl0_inv
	s_and_saveexec_b32 s1, s0
	s_cbranch_execz .LBB4_23
; %bb.21:
	v_mov_b32_e32 v3, 0
	v_lshl_or_b32 v4, v0, 3, 4
	s_lshr_b32 s1, s6, 1
	s_mov_b32 s2, 0
	s_lshl_b32 s3, s4, 3
	ds_read_b64 v[1:2], v3 offset:64
	s_inst_prefetch 0x1
	.p2align	6
.LBB4_22:                               ; =>This Inner Loop Header: Depth=1
	v_add_nc_u32_e32 v5, s1, v0
	v_add_co_u32 v7, vcc_lo, s8, v4
	v_add_co_ci_u32_e64 v8, null, s9, v3, vcc_lo
	v_ashrrev_i32_e32 v6, 31, v5
	v_add_co_u32 v11, vcc_lo, s10, v4
	v_add_co_ci_u32_e64 v12, null, s11, v3, vcc_lo
	v_lshlrev_b64 v[5:6], 3, v[5:6]
	v_add_nc_u32_e32 v0, s4, v0
	v_add_co_u32 v4, vcc_lo, v4, s3
	v_add_co_ci_u32_e64 v3, null, 0, v3, vcc_lo
	v_add_co_u32 v5, s0, s16, v5
	v_add_co_ci_u32_e64 v6, null, s17, v6, s0
	v_cmp_le_i32_e64 s0, s7, v0
	global_load_dwordx2 v[9:10], v[5:6], off
	global_load_dwordx2 v[7:8], v[7:8], off offset:-4
	global_load_dwordx2 v[11:12], v[11:12], off offset:-4
	s_or_b32 s2, s0, s2
	s_waitcnt vmcnt(2) lgkmcnt(0)
	v_sub_f32_e32 v9, v9, v2
	v_sub_f32_e32 v10, v10, v2
	v_mul_f32_e32 v9, v9, v1
	v_mul_f32_e32 v10, v10, v1
	s_waitcnt vmcnt(0)
	v_fma_f32 v11, v7, v9, v11
	v_fmac_f32_e32 v12, v8, v10
	global_store_dwordx2 v[5:6], v[11:12], off
	s_andn2_b32 exec_lo, exec_lo, s2
	s_cbranch_execnz .LBB4_22
.LBB4_23:
	s_inst_prefetch 0x2
	s_endpgm
	.section	.rodata,"a",@progbits
	.p2align	6, 0x0
	.amdhsa_kernel _Z35generalAddBiasResidualPostLayerNormIfLi64EEvPT_PKS0_S3_S3_S3_fi
		.amdhsa_group_segment_fixed_size 72
		.amdhsa_private_segment_fixed_size 0
		.amdhsa_kernarg_size 304
		.amdhsa_user_sgpr_count 6
		.amdhsa_user_sgpr_private_segment_buffer 1
		.amdhsa_user_sgpr_dispatch_ptr 0
		.amdhsa_user_sgpr_queue_ptr 0
		.amdhsa_user_sgpr_kernarg_segment_ptr 1
		.amdhsa_user_sgpr_dispatch_id 0
		.amdhsa_user_sgpr_flat_scratch_init 0
		.amdhsa_user_sgpr_private_segment_size 0
		.amdhsa_wavefront_size32 1
		.amdhsa_uses_dynamic_stack 0
		.amdhsa_system_sgpr_private_segment_wavefront_offset 0
		.amdhsa_system_sgpr_workgroup_id_x 1
		.amdhsa_system_sgpr_workgroup_id_y 0
		.amdhsa_system_sgpr_workgroup_id_z 0
		.amdhsa_system_sgpr_workgroup_info 0
		.amdhsa_system_vgpr_workitem_id 0
		.amdhsa_next_free_vgpr 16
		.amdhsa_next_free_sgpr 21
		.amdhsa_reserve_vcc 1
		.amdhsa_reserve_flat_scratch 0
		.amdhsa_float_round_mode_32 0
		.amdhsa_float_round_mode_16_64 0
		.amdhsa_float_denorm_mode_32 3
		.amdhsa_float_denorm_mode_16_64 3
		.amdhsa_dx10_clamp 1
		.amdhsa_ieee_mode 1
		.amdhsa_fp16_overflow 0
		.amdhsa_workgroup_processor_mode 1
		.amdhsa_memory_ordered 1
		.amdhsa_forward_progress 1
		.amdhsa_shared_vgpr_count 0
		.amdhsa_exception_fp_ieee_invalid_op 0
		.amdhsa_exception_fp_denorm_src 0
		.amdhsa_exception_fp_ieee_div_zero 0
		.amdhsa_exception_fp_ieee_overflow 0
		.amdhsa_exception_fp_ieee_underflow 0
		.amdhsa_exception_fp_ieee_inexact 0
		.amdhsa_exception_int_div_zero 0
	.end_amdhsa_kernel
	.section	.text._Z35generalAddBiasResidualPostLayerNormIfLi64EEvPT_PKS0_S3_S3_S3_fi,"axG",@progbits,_Z35generalAddBiasResidualPostLayerNormIfLi64EEvPT_PKS0_S3_S3_S3_fi,comdat
.Lfunc_end4:
	.size	_Z35generalAddBiasResidualPostLayerNormIfLi64EEvPT_PKS0_S3_S3_S3_fi, .Lfunc_end4-_Z35generalAddBiasResidualPostLayerNormIfLi64EEvPT_PKS0_S3_S3_S3_fi
                                        ; -- End function
	.set _Z35generalAddBiasResidualPostLayerNormIfLi64EEvPT_PKS0_S3_S3_S3_fi.num_vgpr, 16
	.set _Z35generalAddBiasResidualPostLayerNormIfLi64EEvPT_PKS0_S3_S3_S3_fi.num_agpr, 0
	.set _Z35generalAddBiasResidualPostLayerNormIfLi64EEvPT_PKS0_S3_S3_S3_fi.numbered_sgpr, 21
	.set _Z35generalAddBiasResidualPostLayerNormIfLi64EEvPT_PKS0_S3_S3_S3_fi.num_named_barrier, 0
	.set _Z35generalAddBiasResidualPostLayerNormIfLi64EEvPT_PKS0_S3_S3_S3_fi.private_seg_size, 0
	.set _Z35generalAddBiasResidualPostLayerNormIfLi64EEvPT_PKS0_S3_S3_S3_fi.uses_vcc, 1
	.set _Z35generalAddBiasResidualPostLayerNormIfLi64EEvPT_PKS0_S3_S3_S3_fi.uses_flat_scratch, 0
	.set _Z35generalAddBiasResidualPostLayerNormIfLi64EEvPT_PKS0_S3_S3_S3_fi.has_dyn_sized_stack, 0
	.set _Z35generalAddBiasResidualPostLayerNormIfLi64EEvPT_PKS0_S3_S3_S3_fi.has_recursion, 0
	.set _Z35generalAddBiasResidualPostLayerNormIfLi64EEvPT_PKS0_S3_S3_S3_fi.has_indirect_call, 0
	.section	.AMDGPU.csdata,"",@progbits
; Kernel info:
; codeLenInByte = 1716
; TotalNumSgprs: 23
; NumVgprs: 16
; ScratchSize: 0
; MemoryBound: 0
; FloatMode: 240
; IeeeMode: 1
; LDSByteSize: 72 bytes/workgroup (compile time only)
; SGPRBlocks: 0
; VGPRBlocks: 1
; NumSGPRsForWavesPerEU: 23
; NumVGPRsForWavesPerEU: 16
; Occupancy: 16
; WaveLimiterHint : 0
; COMPUTE_PGM_RSRC2:SCRATCH_EN: 0
; COMPUTE_PGM_RSRC2:USER_SGPR: 6
; COMPUTE_PGM_RSRC2:TRAP_HANDLER: 0
; COMPUTE_PGM_RSRC2:TGID_X_EN: 1
; COMPUTE_PGM_RSRC2:TGID_Y_EN: 0
; COMPUTE_PGM_RSRC2:TGID_Z_EN: 0
; COMPUTE_PGM_RSRC2:TIDIG_COMP_CNT: 0
	.section	.text._Z28addBiasResidualPostLayerNormIfLi1ELi32EEvPT_PKS0_S3_S3_S3_fi,"axG",@progbits,_Z28addBiasResidualPostLayerNormIfLi1ELi32EEvPT_PKS0_S3_S3_S3_fi,comdat
	.protected	_Z28addBiasResidualPostLayerNormIfLi1ELi32EEvPT_PKS0_S3_S3_S3_fi ; -- Begin function _Z28addBiasResidualPostLayerNormIfLi1ELi32EEvPT_PKS0_S3_S3_S3_fi
	.globl	_Z28addBiasResidualPostLayerNormIfLi1ELi32EEvPT_PKS0_S3_S3_S3_fi
	.p2align	8
	.type	_Z28addBiasResidualPostLayerNormIfLi1ELi32EEvPT_PKS0_S3_S3_S3_fi,@function
_Z28addBiasResidualPostLayerNormIfLi1ELi32EEvPT_PKS0_S3_S3_S3_fi: ; @_Z28addBiasResidualPostLayerNormIfLi1ELi32EEvPT_PKS0_S3_S3_S3_fi
; %bb.0:
	s_clause 0x1
	s_load_dwordx2 s[10:11], s[4:5], 0x28
	s_load_dwordx2 s[8:9], s[4:5], 0x0
	v_mov_b32_e32 v5, 0
	v_lshlrev_b32_e32 v1, 2, v0
                                        ; implicit-def: $vgpr2
	s_waitcnt lgkmcnt(0)
	v_cmp_gt_i32_e64 s0, s11, v0
	s_and_saveexec_b32 s1, s0
	s_cbranch_execz .LBB5_2
; %bb.1:
	s_load_dwordx4 s[12:15], s[4:5], 0x8
	v_mad_u64_u32 v[2:3], null, s11, s6, v[0:1]
	v_mov_b32_e32 v3, 0
	v_lshlrev_b64 v[2:3], 2, v[2:3]
	v_add_co_u32 v4, vcc_lo, s8, v2
	v_add_co_ci_u32_e64 v5, null, s9, v3, vcc_lo
	s_waitcnt lgkmcnt(0)
	v_add_co_u32 v2, vcc_lo, s12, v2
	v_add_co_ci_u32_e64 v3, null, s13, v3, vcc_lo
	global_load_dword v4, v[4:5], off
	global_load_dword v2, v[2:3], off
	global_load_dword v3, v1, s[14:15]
	s_waitcnt vmcnt(1)
	v_add_f32_e32 v2, v4, v2
	s_waitcnt vmcnt(0)
	v_add_f32_e32 v2, v2, v3
	v_add_f32_e32 v5, 0, v2
.LBB5_2:
	s_or_b32 exec_lo, exec_lo, s1
	v_mbcnt_lo_u32_b32 v7, -1, 0
	v_xor_b32_e32 v3, 16, v7
	v_xor_b32_e32 v4, 8, v7
	;; [unrolled: 1-line block ×3, first 2 shown]
	v_cmp_gt_i32_e32 vcc_lo, 32, v3
	v_cndmask_b32_e32 v3, v7, v3, vcc_lo
	v_cmp_gt_i32_e32 vcc_lo, 32, v4
	v_lshlrev_b32_e32 v3, 2, v3
	v_cndmask_b32_e32 v4, v7, v4, vcc_lo
	ds_bpermute_b32 v6, v3, v5
	v_lshlrev_b32_e32 v4, 2, v4
	s_waitcnt lgkmcnt(0)
	v_add_f32_e32 v6, v5, v6
	v_xor_b32_e32 v5, 4, v7
	ds_bpermute_b32 v8, v4, v6
	v_cmp_gt_i32_e32 vcc_lo, 32, v5
	v_cndmask_b32_e32 v5, v7, v5, vcc_lo
	v_lshlrev_b32_e32 v5, 2, v5
	s_waitcnt lgkmcnt(0)
	v_add_f32_e32 v8, v6, v8
	v_xor_b32_e32 v6, 2, v7
	ds_bpermute_b32 v9, v5, v8
	v_cmp_gt_i32_e32 vcc_lo, 32, v6
	v_cndmask_b32_e32 v6, v7, v6, vcc_lo
	v_cmp_gt_i32_e32 vcc_lo, 32, v10
	v_lshlrev_b32_e32 v6, 2, v6
	v_cndmask_b32_e32 v7, v7, v10, vcc_lo
	v_lshlrev_b32_e32 v7, 2, v7
	s_waitcnt lgkmcnt(0)
	v_add_f32_e32 v8, v8, v9
	ds_bpermute_b32 v9, v6, v8
	s_waitcnt lgkmcnt(0)
	v_add_f32_e32 v10, v8, v9
	v_and_b32_e32 v8, 31, v0
	v_lshrrev_b32_e32 v9, 3, v0
	ds_bpermute_b32 v11, v7, v10
	v_cmp_eq_u32_e64 s1, 0, v8
	s_and_saveexec_b32 s2, s1
	s_cbranch_execz .LBB5_4
; %bb.3:
	s_waitcnt lgkmcnt(0)
	v_add_f32_e32 v10, v10, v11
	ds_write_b32 v9, v10
.LBB5_4:
	s_or_b32 exec_lo, exec_lo, s2
	s_waitcnt lgkmcnt(0)
	s_barrier
	buffer_gl0_inv
	s_load_dword s2, s[4:5], 0x3c
	v_mov_b32_e32 v11, 0
	v_lshlrev_b32_e32 v10, 2, v8
	s_waitcnt lgkmcnt(0)
	s_bfe_u32 s2, s2, 0xb0005
	v_cmp_gt_u32_e64 s2, s2, v0
	s_and_saveexec_b32 s3, s2
; %bb.5:
	ds_read_b32 v11, v10
; %bb.6:
	s_or_b32 exec_lo, exec_lo, s3
	s_waitcnt lgkmcnt(0)
	ds_bpermute_b32 v8, v3, v11
	v_cmp_eq_u32_e64 s3, 0, v0
	s_waitcnt lgkmcnt(0)
	v_add_f32_e32 v8, v11, v8
	ds_bpermute_b32 v11, v4, v8
	s_waitcnt lgkmcnt(0)
	v_add_f32_e32 v8, v8, v11
	ds_bpermute_b32 v11, v5, v8
	;; [unrolled: 3-line block ×3, first 2 shown]
	s_waitcnt lgkmcnt(0)
	v_add_f32_e32 v11, v8, v11
	v_cvt_f32_i32_e32 v8, s11
	ds_bpermute_b32 v12, v7, v11
	s_and_saveexec_b32 s7, s3
	s_cbranch_execz .LBB5_8
; %bb.7:
	s_waitcnt lgkmcnt(0)
	v_add_f32_e32 v11, v11, v12
	v_div_scale_f32 v12, null, v8, v8, v11
	v_div_scale_f32 v15, vcc_lo, v11, v8, v11
	v_rcp_f32_e32 v13, v12
	v_fma_f32 v14, -v12, v13, 1.0
	v_fmac_f32_e32 v13, v14, v13
	v_mul_f32_e32 v14, v15, v13
	v_fma_f32 v16, -v12, v14, v15
	v_fmac_f32_e32 v14, v16, v13
	v_fma_f32 v12, -v12, v14, v15
	v_div_fmas_f32 v12, v12, v13, v14
	v_div_fixup_f32 v11, v12, v8, v11
	v_mov_b32_e32 v12, 0
	ds_write_b32 v12, v11 offset:132
.LBB5_8:
	s_or_b32 exec_lo, exec_lo, s7
	v_mov_b32_e32 v11, 0
	s_waitcnt lgkmcnt(0)
	s_barrier
	buffer_gl0_inv
	ds_read_b32 v12, v11 offset:132
	s_waitcnt lgkmcnt(0)
	v_sub_f32_e32 v12, v2, v12
	v_mul_f32_e32 v12, v12, v12
	v_cndmask_b32_e64 v12, 0, v12, s0
	ds_bpermute_b32 v13, v3, v12
	s_waitcnt lgkmcnt(0)
	v_add_f32_e32 v12, v12, v13
	ds_bpermute_b32 v13, v4, v12
	s_waitcnt lgkmcnt(0)
	v_add_f32_e32 v12, v12, v13
	;; [unrolled: 3-line block ×4, first 2 shown]
	ds_bpermute_b32 v13, v7, v12
	s_and_saveexec_b32 s7, s1
	s_cbranch_execz .LBB5_10
; %bb.9:
	s_waitcnt lgkmcnt(0)
	v_add_f32_e32 v12, v12, v13
	ds_write_b32 v9, v12
.LBB5_10:
	s_or_b32 exec_lo, exec_lo, s7
	s_waitcnt lgkmcnt(0)
	s_barrier
	buffer_gl0_inv
	s_and_saveexec_b32 s1, s2
; %bb.11:
	ds_read_b32 v11, v10
; %bb.12:
	s_or_b32 exec_lo, exec_lo, s1
	s_waitcnt lgkmcnt(0)
	ds_bpermute_b32 v3, v3, v11
	s_waitcnt lgkmcnt(0)
	v_add_f32_e32 v3, v11, v3
	ds_bpermute_b32 v4, v4, v3
	s_waitcnt lgkmcnt(0)
	v_add_f32_e32 v3, v3, v4
	;; [unrolled: 3-line block ×4, first 2 shown]
	ds_bpermute_b32 v4, v7, v3
	s_and_saveexec_b32 s1, s3
	s_cbranch_execz .LBB5_14
; %bb.13:
	s_waitcnt lgkmcnt(0)
	v_add_f32_e32 v3, v3, v4
	v_div_scale_f32 v4, null, v8, v8, v3
	v_div_scale_f32 v7, vcc_lo, v3, v8, v3
	v_rcp_f32_e32 v5, v4
	v_fma_f32 v6, -v4, v5, 1.0
	v_fmac_f32_e32 v5, v6, v5
	v_mul_f32_e32 v6, v7, v5
	v_fma_f32 v9, -v4, v6, v7
	v_fmac_f32_e32 v6, v9, v5
	v_fma_f32 v4, -v4, v6, v7
	v_div_fmas_f32 v4, v4, v5, v6
	v_div_fixup_f32 v3, v4, v8, v3
	v_mov_b32_e32 v4, 0
	v_add_f32_e32 v3, s10, v3
	ds_write_b32 v4, v3 offset:128
.LBB5_14:
	s_or_b32 exec_lo, exec_lo, s1
	s_waitcnt lgkmcnt(0)
	s_barrier
	buffer_gl0_inv
	s_and_saveexec_b32 s1, s0
	s_cbranch_execz .LBB5_16
; %bb.15:
	s_load_dwordx4 s[0:3], s[4:5], 0x18
	v_mov_b32_e32 v7, 0
	s_waitcnt lgkmcnt(0)
	s_clause 0x1
	global_load_dword v5, v1, s[0:1]
	global_load_dword v6, v1, s[2:3]
	ds_read_b64 v[3:4], v7 offset:128
	s_waitcnt lgkmcnt(0)
	v_mul_f32_e32 v1, 0x4b800000, v3
	v_cmp_gt_f32_e32 vcc_lo, 0x800000, v3
	v_sub_f32_e32 v2, v2, v4
	v_cndmask_b32_e32 v1, v3, v1, vcc_lo
	v_rsq_f32_e32 v3, v1
	v_mad_u64_u32 v[0:1], null, s11, s6, v[0:1]
	v_mov_b32_e32 v1, v7
	v_lshlrev_b64 v[0:1], 2, v[0:1]
	v_mul_f32_e32 v8, 0x45800000, v3
	v_cndmask_b32_e32 v3, v3, v8, vcc_lo
	v_add_co_u32 v0, vcc_lo, s8, v0
	v_add_co_ci_u32_e64 v1, null, s9, v1, vcc_lo
	v_mul_f32_e32 v2, v2, v3
	s_waitcnt vmcnt(0)
	v_fmac_f32_e32 v6, v5, v2
	global_store_dword v[0:1], v6, off
.LBB5_16:
	s_endpgm
	.section	.rodata,"a",@progbits
	.p2align	6, 0x0
	.amdhsa_kernel _Z28addBiasResidualPostLayerNormIfLi1ELi32EEvPT_PKS0_S3_S3_S3_fi
		.amdhsa_group_segment_fixed_size 136
		.amdhsa_private_segment_fixed_size 0
		.amdhsa_kernarg_size 304
		.amdhsa_user_sgpr_count 6
		.amdhsa_user_sgpr_private_segment_buffer 1
		.amdhsa_user_sgpr_dispatch_ptr 0
		.amdhsa_user_sgpr_queue_ptr 0
		.amdhsa_user_sgpr_kernarg_segment_ptr 1
		.amdhsa_user_sgpr_dispatch_id 0
		.amdhsa_user_sgpr_flat_scratch_init 0
		.amdhsa_user_sgpr_private_segment_size 0
		.amdhsa_wavefront_size32 1
		.amdhsa_uses_dynamic_stack 0
		.amdhsa_system_sgpr_private_segment_wavefront_offset 0
		.amdhsa_system_sgpr_workgroup_id_x 1
		.amdhsa_system_sgpr_workgroup_id_y 0
		.amdhsa_system_sgpr_workgroup_id_z 0
		.amdhsa_system_sgpr_workgroup_info 0
		.amdhsa_system_vgpr_workitem_id 0
		.amdhsa_next_free_vgpr 17
		.amdhsa_next_free_sgpr 16
		.amdhsa_reserve_vcc 1
		.amdhsa_reserve_flat_scratch 0
		.amdhsa_float_round_mode_32 0
		.amdhsa_float_round_mode_16_64 0
		.amdhsa_float_denorm_mode_32 3
		.amdhsa_float_denorm_mode_16_64 3
		.amdhsa_dx10_clamp 1
		.amdhsa_ieee_mode 1
		.amdhsa_fp16_overflow 0
		.amdhsa_workgroup_processor_mode 1
		.amdhsa_memory_ordered 1
		.amdhsa_forward_progress 1
		.amdhsa_shared_vgpr_count 0
		.amdhsa_exception_fp_ieee_invalid_op 0
		.amdhsa_exception_fp_denorm_src 0
		.amdhsa_exception_fp_ieee_div_zero 0
		.amdhsa_exception_fp_ieee_overflow 0
		.amdhsa_exception_fp_ieee_underflow 0
		.amdhsa_exception_fp_ieee_inexact 0
		.amdhsa_exception_int_div_zero 0
	.end_amdhsa_kernel
	.section	.text._Z28addBiasResidualPostLayerNormIfLi1ELi32EEvPT_PKS0_S3_S3_S3_fi,"axG",@progbits,_Z28addBiasResidualPostLayerNormIfLi1ELi32EEvPT_PKS0_S3_S3_S3_fi,comdat
.Lfunc_end5:
	.size	_Z28addBiasResidualPostLayerNormIfLi1ELi32EEvPT_PKS0_S3_S3_S3_fi, .Lfunc_end5-_Z28addBiasResidualPostLayerNormIfLi1ELi32EEvPT_PKS0_S3_S3_S3_fi
                                        ; -- End function
	.set _Z28addBiasResidualPostLayerNormIfLi1ELi32EEvPT_PKS0_S3_S3_S3_fi.num_vgpr, 17
	.set _Z28addBiasResidualPostLayerNormIfLi1ELi32EEvPT_PKS0_S3_S3_S3_fi.num_agpr, 0
	.set _Z28addBiasResidualPostLayerNormIfLi1ELi32EEvPT_PKS0_S3_S3_S3_fi.numbered_sgpr, 16
	.set _Z28addBiasResidualPostLayerNormIfLi1ELi32EEvPT_PKS0_S3_S3_S3_fi.num_named_barrier, 0
	.set _Z28addBiasResidualPostLayerNormIfLi1ELi32EEvPT_PKS0_S3_S3_S3_fi.private_seg_size, 0
	.set _Z28addBiasResidualPostLayerNormIfLi1ELi32EEvPT_PKS0_S3_S3_S3_fi.uses_vcc, 1
	.set _Z28addBiasResidualPostLayerNormIfLi1ELi32EEvPT_PKS0_S3_S3_S3_fi.uses_flat_scratch, 0
	.set _Z28addBiasResidualPostLayerNormIfLi1ELi32EEvPT_PKS0_S3_S3_S3_fi.has_dyn_sized_stack, 0
	.set _Z28addBiasResidualPostLayerNormIfLi1ELi32EEvPT_PKS0_S3_S3_S3_fi.has_recursion, 0
	.set _Z28addBiasResidualPostLayerNormIfLi1ELi32EEvPT_PKS0_S3_S3_S3_fi.has_indirect_call, 0
	.section	.AMDGPU.csdata,"",@progbits
; Kernel info:
; codeLenInByte = 1160
; TotalNumSgprs: 18
; NumVgprs: 17
; ScratchSize: 0
; MemoryBound: 0
; FloatMode: 240
; IeeeMode: 1
; LDSByteSize: 136 bytes/workgroup (compile time only)
; SGPRBlocks: 0
; VGPRBlocks: 2
; NumSGPRsForWavesPerEU: 18
; NumVGPRsForWavesPerEU: 17
; Occupancy: 16
; WaveLimiterHint : 0
; COMPUTE_PGM_RSRC2:SCRATCH_EN: 0
; COMPUTE_PGM_RSRC2:USER_SGPR: 6
; COMPUTE_PGM_RSRC2:TRAP_HANDLER: 0
; COMPUTE_PGM_RSRC2:TGID_X_EN: 1
; COMPUTE_PGM_RSRC2:TGID_Y_EN: 0
; COMPUTE_PGM_RSRC2:TGID_Z_EN: 0
; COMPUTE_PGM_RSRC2:TIDIG_COMP_CNT: 0
	.section	.text._Z28addBiasResidualPostLayerNormIfLi2ELi32EEvPT_PKS0_S3_S3_S3_fi,"axG",@progbits,_Z28addBiasResidualPostLayerNormIfLi2ELi32EEvPT_PKS0_S3_S3_S3_fi,comdat
	.protected	_Z28addBiasResidualPostLayerNormIfLi2ELi32EEvPT_PKS0_S3_S3_S3_fi ; -- Begin function _Z28addBiasResidualPostLayerNormIfLi2ELi32EEvPT_PKS0_S3_S3_S3_fi
	.globl	_Z28addBiasResidualPostLayerNormIfLi2ELi32EEvPT_PKS0_S3_S3_S3_fi
	.p2align	8
	.type	_Z28addBiasResidualPostLayerNormIfLi2ELi32EEvPT_PKS0_S3_S3_S3_fi,@function
_Z28addBiasResidualPostLayerNormIfLi2ELi32EEvPT_PKS0_S3_S3_S3_fi: ; @_Z28addBiasResidualPostLayerNormIfLi2ELi32EEvPT_PKS0_S3_S3_S3_fi
; %bb.0:
	s_clause 0x1
	s_load_dwordx2 s[14:15], s[4:5], 0x28
	s_load_dwordx2 s[12:13], s[4:5], 0x0
	v_mov_b32_e32 v6, 0
	v_mov_b32_e32 v3, 0
	v_lshlrev_b32_e32 v7, 2, v0
	v_mov_b32_e32 v2, v6
	s_waitcnt lgkmcnt(0)
	s_mul_i32 s6, s15, s6
	v_cmp_gt_i32_e64 s0, s15, v0
	v_add_nc_u32_e32 v1, s6, v0
	s_and_saveexec_b32 s1, s0
	s_cbranch_execz .LBB6_4
; %bb.1:
	s_clause 0x1
	s_load_dwordx4 s[8:11], s[4:5], 0x8
	s_load_dword s2, s[4:5], 0x3c
	v_mov_b32_e32 v2, 0
	v_lshlrev_b64 v[3:4], 2, v[1:2]
	v_add_co_u32 v5, vcc_lo, s12, v3
	v_add_co_ci_u32_e64 v6, null, s13, v4, vcc_lo
	s_waitcnt lgkmcnt(0)
	v_add_co_u32 v3, vcc_lo, s8, v3
	v_add_co_ci_u32_e64 v4, null, s9, v4, vcc_lo
	s_and_b32 s3, s2, 0xffff
	s_mov_b32 s2, exec_lo
	global_load_dword v5, v[5:6], off
	global_load_dword v3, v[3:4], off
	global_load_dword v4, v7, s[10:11]
	s_waitcnt vmcnt(1)
	v_add_f32_e32 v3, v5, v3
	s_waitcnt vmcnt(0)
	v_add_f32_e32 v3, v3, v4
	v_add_nc_u32_e32 v4, s3, v0
	v_add_f32_e32 v6, 0, v3
	v_cmpx_gt_u32_e64 s15, v4
	s_cbranch_execz .LBB6_3
; %bb.2:
	v_add_nc_u32_e32 v4, s6, v4
	v_mov_b32_e32 v5, 0
	v_add_co_u32 v2, s7, s10, v7
	v_add_co_ci_u32_e64 v10, null, s11, 0, s7
	v_lshlrev_b64 v[4:5], 2, v[4:5]
	s_lshl_b32 s3, s3, 2
	v_add_co_u32 v8, vcc_lo, s12, v4
	v_add_co_ci_u32_e64 v9, null, s13, v5, vcc_lo
	v_add_co_u32 v4, vcc_lo, s8, v4
	v_add_co_ci_u32_e64 v5, null, s9, v5, vcc_lo
	global_load_dword v8, v[8:9], off
	global_load_dword v9, v[4:5], off
	v_add_co_u32 v4, vcc_lo, v2, s3
	v_add_co_ci_u32_e64 v5, null, 0, v10, vcc_lo
	global_load_dword v2, v[4:5], off
	s_waitcnt vmcnt(1)
	v_add_f32_e32 v4, v8, v9
	s_waitcnt vmcnt(0)
	v_add_f32_e32 v2, v4, v2
	v_add_f32_e32 v6, v6, v2
.LBB6_3:
	s_or_b32 exec_lo, exec_lo, s2
.LBB6_4:
	s_or_b32 exec_lo, exec_lo, s1
	v_mbcnt_lo_u32_b32 v9, -1, 0
	v_xor_b32_e32 v4, 16, v9
	v_xor_b32_e32 v5, 8, v9
	;; [unrolled: 1-line block ×3, first 2 shown]
	v_cmp_gt_i32_e32 vcc_lo, 32, v4
	v_cndmask_b32_e32 v4, v9, v4, vcc_lo
	v_cmp_gt_i32_e32 vcc_lo, 32, v5
	v_lshlrev_b32_e32 v4, 2, v4
	v_cndmask_b32_e32 v5, v9, v5, vcc_lo
	ds_bpermute_b32 v8, v4, v6
	v_lshlrev_b32_e32 v5, 2, v5
	s_waitcnt lgkmcnt(0)
	v_add_f32_e32 v8, v6, v8
	v_xor_b32_e32 v6, 4, v9
	ds_bpermute_b32 v10, v5, v8
	v_cmp_gt_i32_e32 vcc_lo, 32, v6
	v_cndmask_b32_e32 v6, v9, v6, vcc_lo
	v_lshlrev_b32_e32 v6, 2, v6
	s_waitcnt lgkmcnt(0)
	v_add_f32_e32 v10, v8, v10
	v_xor_b32_e32 v8, 2, v9
	ds_bpermute_b32 v11, v6, v10
	v_cmp_gt_i32_e32 vcc_lo, 32, v8
	v_cndmask_b32_e32 v8, v9, v8, vcc_lo
	v_cmp_gt_i32_e32 vcc_lo, 32, v12
	v_lshlrev_b32_e32 v8, 2, v8
	v_cndmask_b32_e32 v9, v9, v12, vcc_lo
	v_lshlrev_b32_e32 v9, 2, v9
	s_waitcnt lgkmcnt(0)
	v_add_f32_e32 v10, v10, v11
	ds_bpermute_b32 v11, v8, v10
	s_waitcnt lgkmcnt(0)
	v_add_f32_e32 v12, v10, v11
	v_and_b32_e32 v10, 31, v0
	v_lshrrev_b32_e32 v11, 3, v0
	ds_bpermute_b32 v13, v9, v12
	v_cmp_eq_u32_e64 s1, 0, v10
	s_and_saveexec_b32 s2, s1
	s_cbranch_execz .LBB6_6
; %bb.5:
	s_waitcnt lgkmcnt(0)
	v_add_f32_e32 v12, v12, v13
	ds_write_b32 v11, v12
.LBB6_6:
	s_or_b32 exec_lo, exec_lo, s2
	s_waitcnt lgkmcnt(0)
	s_barrier
	buffer_gl0_inv
	s_load_dword s7, s[4:5], 0x3c
	v_mov_b32_e32 v13, 0
	v_lshlrev_b32_e32 v12, 2, v10
	s_waitcnt lgkmcnt(0)
	s_bfe_u32 s2, s7, 0xb0005
	v_cmp_gt_u32_e64 s2, s2, v0
	s_and_saveexec_b32 s3, s2
; %bb.7:
	ds_read_b32 v13, v12
; %bb.8:
	s_or_b32 exec_lo, exec_lo, s3
	s_waitcnt lgkmcnt(0)
	ds_bpermute_b32 v10, v4, v13
	v_cmp_eq_u32_e64 s3, 0, v0
	s_waitcnt lgkmcnt(0)
	v_add_f32_e32 v10, v13, v10
	ds_bpermute_b32 v13, v5, v10
	s_waitcnt lgkmcnt(0)
	v_add_f32_e32 v10, v10, v13
	ds_bpermute_b32 v13, v6, v10
	;; [unrolled: 3-line block ×3, first 2 shown]
	s_waitcnt lgkmcnt(0)
	v_add_f32_e32 v13, v10, v13
	v_cvt_f32_i32_e32 v10, s15
	ds_bpermute_b32 v14, v9, v13
	s_and_saveexec_b32 s8, s3
	s_cbranch_execz .LBB6_10
; %bb.9:
	s_waitcnt lgkmcnt(0)
	v_add_f32_e32 v13, v13, v14
	v_div_scale_f32 v14, null, v10, v10, v13
	v_div_scale_f32 v17, vcc_lo, v13, v10, v13
	v_rcp_f32_e32 v15, v14
	v_fma_f32 v16, -v14, v15, 1.0
	v_fmac_f32_e32 v15, v16, v15
	v_mul_f32_e32 v16, v17, v15
	v_fma_f32 v18, -v14, v16, v17
	v_fmac_f32_e32 v16, v18, v15
	v_fma_f32 v14, -v14, v16, v17
	v_div_fmas_f32 v14, v14, v15, v16
	v_div_fixup_f32 v13, v14, v10, v13
	v_mov_b32_e32 v14, 0
	ds_write_b32 v14, v13 offset:132
.LBB6_10:
	s_or_b32 exec_lo, exec_lo, s8
	s_and_b32 s7, 0xffff, s7
	v_mov_b32_e32 v13, 0
	v_add_nc_u32_e32 v0, s7, v0
	s_waitcnt lgkmcnt(0)
	s_barrier
	buffer_gl0_inv
	s_and_saveexec_b32 s8, s0
	s_cbranch_execz .LBB6_12
; %bb.11:
	v_mov_b32_e32 v13, 0
	v_cmp_gt_u32_e32 vcc_lo, s15, v0
	ds_read_b32 v13, v13 offset:132
	s_waitcnt lgkmcnt(0)
	v_sub_f32_e32 v14, v3, v13
	v_sub_f32_e32 v13, v2, v13
	v_mul_f32_e32 v14, v14, v14
	v_fma_f32 v13, v13, v13, v14
	v_cndmask_b32_e32 v13, v14, v13, vcc_lo
.LBB6_12:
	s_or_b32 exec_lo, exec_lo, s8
	ds_bpermute_b32 v14, v4, v13
	s_waitcnt lgkmcnt(0)
	v_add_f32_e32 v13, v13, v14
	ds_bpermute_b32 v14, v5, v13
	s_waitcnt lgkmcnt(0)
	v_add_f32_e32 v13, v13, v14
	;; [unrolled: 3-line block ×4, first 2 shown]
	ds_bpermute_b32 v14, v9, v13
	s_and_saveexec_b32 s8, s1
	s_cbranch_execz .LBB6_14
; %bb.13:
	s_waitcnt lgkmcnt(0)
	v_add_f32_e32 v13, v13, v14
	ds_write_b32 v11, v13
.LBB6_14:
	s_or_b32 exec_lo, exec_lo, s8
	v_mov_b32_e32 v11, 0
	s_waitcnt lgkmcnt(0)
	s_barrier
	buffer_gl0_inv
	s_and_saveexec_b32 s1, s2
; %bb.15:
	ds_read_b32 v11, v12
; %bb.16:
	s_or_b32 exec_lo, exec_lo, s1
	s_waitcnt lgkmcnt(0)
	ds_bpermute_b32 v4, v4, v11
	s_waitcnt lgkmcnt(0)
	v_add_f32_e32 v4, v11, v4
	ds_bpermute_b32 v5, v5, v4
	s_waitcnt lgkmcnt(0)
	v_add_f32_e32 v4, v4, v5
	;; [unrolled: 3-line block ×4, first 2 shown]
	ds_bpermute_b32 v5, v9, v4
	s_and_saveexec_b32 s1, s3
	s_cbranch_execz .LBB6_18
; %bb.17:
	s_waitcnt lgkmcnt(0)
	v_add_f32_e32 v4, v4, v5
	v_div_scale_f32 v5, null, v10, v10, v4
	v_div_scale_f32 v9, vcc_lo, v4, v10, v4
	v_rcp_f32_e32 v6, v5
	v_fma_f32 v8, -v5, v6, 1.0
	v_fmac_f32_e32 v6, v8, v6
	v_mul_f32_e32 v8, v9, v6
	v_fma_f32 v11, -v5, v8, v9
	v_fmac_f32_e32 v8, v11, v6
	v_fma_f32 v5, -v5, v8, v9
	v_div_fmas_f32 v5, v5, v6, v8
	v_div_fixup_f32 v4, v5, v10, v4
	v_mov_b32_e32 v5, 0
	v_add_f32_e32 v4, s14, v4
	ds_write_b32 v5, v4 offset:128
.LBB6_18:
	s_or_b32 exec_lo, exec_lo, s1
	s_waitcnt lgkmcnt(0)
	s_barrier
	buffer_gl0_inv
	s_and_saveexec_b32 s1, s0
	s_cbranch_execz .LBB6_21
; %bb.19:
	s_load_dwordx4 s[0:3], s[4:5], 0x18
	v_mov_b32_e32 v4, 0
	s_waitcnt lgkmcnt(0)
	s_clause 0x1
	global_load_dword v10, v7, s[0:1]
	global_load_dword v11, v7, s[2:3]
	ds_read_b64 v[5:6], v4 offset:128
	s_waitcnt lgkmcnt(0)
	v_mul_f32_e32 v8, 0x4b800000, v5
	v_cmp_gt_f32_e32 vcc_lo, 0x800000, v5
	v_sub_f32_e32 v9, v3, v6
	v_mov_b32_e32 v3, v1
	v_cndmask_b32_e32 v5, v5, v8, vcc_lo
	v_rsq_f32_e32 v5, v5
	v_mul_f32_e32 v8, 0x45800000, v5
	v_cndmask_b32_e32 v5, v5, v8, vcc_lo
	v_mul_f32_e32 v1, v9, v5
	v_lshlrev_b64 v[8:9], 2, v[3:4]
	v_add_co_u32 v8, vcc_lo, s12, v8
	v_add_co_ci_u32_e64 v9, null, s13, v9, vcc_lo
	v_cmp_gt_u32_e32 vcc_lo, s15, v0
	s_waitcnt vmcnt(0)
	v_fmac_f32_e32 v11, v10, v1
	global_store_dword v[8:9], v11, off
	s_and_b32 exec_lo, exec_lo, vcc_lo
	s_cbranch_execz .LBB6_21
; %bb.20:
	v_add_co_u32 v1, s0, s0, v7
	v_add_co_ci_u32_e64 v3, null, s1, 0, s0
	v_add_co_u32 v9, s0, s2, v7
	v_add_co_ci_u32_e64 v10, null, s3, 0, s0
	s_lshl_b32 s0, s7, 2
	v_add_co_u32 v7, vcc_lo, v1, s0
	v_add_co_ci_u32_e64 v8, null, 0, v3, vcc_lo
	v_add_co_u32 v9, vcc_lo, v9, s0
	v_add_co_ci_u32_e64 v10, null, 0, v10, vcc_lo
	global_load_dword v7, v[7:8], off
	global_load_dword v8, v[9:10], off
	v_sub_f32_e32 v1, v2, v6
	v_add_nc_u32_e32 v3, s6, v0
	v_mul_f32_e32 v2, v1, v5
	v_lshlrev_b64 v[0:1], 2, v[3:4]
	v_add_co_u32 v0, vcc_lo, s12, v0
	v_add_co_ci_u32_e64 v1, null, s13, v1, vcc_lo
	s_waitcnt vmcnt(0)
	v_fmac_f32_e32 v8, v7, v2
	global_store_dword v[0:1], v8, off
.LBB6_21:
	s_endpgm
	.section	.rodata,"a",@progbits
	.p2align	6, 0x0
	.amdhsa_kernel _Z28addBiasResidualPostLayerNormIfLi2ELi32EEvPT_PKS0_S3_S3_S3_fi
		.amdhsa_group_segment_fixed_size 136
		.amdhsa_private_segment_fixed_size 0
		.amdhsa_kernarg_size 304
		.amdhsa_user_sgpr_count 6
		.amdhsa_user_sgpr_private_segment_buffer 1
		.amdhsa_user_sgpr_dispatch_ptr 0
		.amdhsa_user_sgpr_queue_ptr 0
		.amdhsa_user_sgpr_kernarg_segment_ptr 1
		.amdhsa_user_sgpr_dispatch_id 0
		.amdhsa_user_sgpr_flat_scratch_init 0
		.amdhsa_user_sgpr_private_segment_size 0
		.amdhsa_wavefront_size32 1
		.amdhsa_uses_dynamic_stack 0
		.amdhsa_system_sgpr_private_segment_wavefront_offset 0
		.amdhsa_system_sgpr_workgroup_id_x 1
		.amdhsa_system_sgpr_workgroup_id_y 0
		.amdhsa_system_sgpr_workgroup_id_z 0
		.amdhsa_system_sgpr_workgroup_info 0
		.amdhsa_system_vgpr_workitem_id 0
		.amdhsa_next_free_vgpr 19
		.amdhsa_next_free_sgpr 16
		.amdhsa_reserve_vcc 1
		.amdhsa_reserve_flat_scratch 0
		.amdhsa_float_round_mode_32 0
		.amdhsa_float_round_mode_16_64 0
		.amdhsa_float_denorm_mode_32 3
		.amdhsa_float_denorm_mode_16_64 3
		.amdhsa_dx10_clamp 1
		.amdhsa_ieee_mode 1
		.amdhsa_fp16_overflow 0
		.amdhsa_workgroup_processor_mode 1
		.amdhsa_memory_ordered 1
		.amdhsa_forward_progress 1
		.amdhsa_shared_vgpr_count 0
		.amdhsa_exception_fp_ieee_invalid_op 0
		.amdhsa_exception_fp_denorm_src 0
		.amdhsa_exception_fp_ieee_div_zero 0
		.amdhsa_exception_fp_ieee_overflow 0
		.amdhsa_exception_fp_ieee_underflow 0
		.amdhsa_exception_fp_ieee_inexact 0
		.amdhsa_exception_int_div_zero 0
	.end_amdhsa_kernel
	.section	.text._Z28addBiasResidualPostLayerNormIfLi2ELi32EEvPT_PKS0_S3_S3_S3_fi,"axG",@progbits,_Z28addBiasResidualPostLayerNormIfLi2ELi32EEvPT_PKS0_S3_S3_S3_fi,comdat
.Lfunc_end6:
	.size	_Z28addBiasResidualPostLayerNormIfLi2ELi32EEvPT_PKS0_S3_S3_S3_fi, .Lfunc_end6-_Z28addBiasResidualPostLayerNormIfLi2ELi32EEvPT_PKS0_S3_S3_S3_fi
                                        ; -- End function
	.set _Z28addBiasResidualPostLayerNormIfLi2ELi32EEvPT_PKS0_S3_S3_S3_fi.num_vgpr, 19
	.set _Z28addBiasResidualPostLayerNormIfLi2ELi32EEvPT_PKS0_S3_S3_S3_fi.num_agpr, 0
	.set _Z28addBiasResidualPostLayerNormIfLi2ELi32EEvPT_PKS0_S3_S3_S3_fi.numbered_sgpr, 16
	.set _Z28addBiasResidualPostLayerNormIfLi2ELi32EEvPT_PKS0_S3_S3_S3_fi.num_named_barrier, 0
	.set _Z28addBiasResidualPostLayerNormIfLi2ELi32EEvPT_PKS0_S3_S3_S3_fi.private_seg_size, 0
	.set _Z28addBiasResidualPostLayerNormIfLi2ELi32EEvPT_PKS0_S3_S3_S3_fi.uses_vcc, 1
	.set _Z28addBiasResidualPostLayerNormIfLi2ELi32EEvPT_PKS0_S3_S3_S3_fi.uses_flat_scratch, 0
	.set _Z28addBiasResidualPostLayerNormIfLi2ELi32EEvPT_PKS0_S3_S3_S3_fi.has_dyn_sized_stack, 0
	.set _Z28addBiasResidualPostLayerNormIfLi2ELi32EEvPT_PKS0_S3_S3_S3_fi.has_recursion, 0
	.set _Z28addBiasResidualPostLayerNormIfLi2ELi32EEvPT_PKS0_S3_S3_S3_fi.has_indirect_call, 0
	.section	.AMDGPU.csdata,"",@progbits
; Kernel info:
; codeLenInByte = 1524
; TotalNumSgprs: 18
; NumVgprs: 19
; ScratchSize: 0
; MemoryBound: 0
; FloatMode: 240
; IeeeMode: 1
; LDSByteSize: 136 bytes/workgroup (compile time only)
; SGPRBlocks: 0
; VGPRBlocks: 2
; NumSGPRsForWavesPerEU: 18
; NumVGPRsForWavesPerEU: 19
; Occupancy: 16
; WaveLimiterHint : 0
; COMPUTE_PGM_RSRC2:SCRATCH_EN: 0
; COMPUTE_PGM_RSRC2:USER_SGPR: 6
; COMPUTE_PGM_RSRC2:TRAP_HANDLER: 0
; COMPUTE_PGM_RSRC2:TGID_X_EN: 1
; COMPUTE_PGM_RSRC2:TGID_Y_EN: 0
; COMPUTE_PGM_RSRC2:TGID_Z_EN: 0
; COMPUTE_PGM_RSRC2:TIDIG_COMP_CNT: 0
	.section	.text._Z35generalAddBiasResidualPostLayerNormIfLi32EEvPT_PKS0_S3_S3_S3_fi,"axG",@progbits,_Z35generalAddBiasResidualPostLayerNormIfLi32EEvPT_PKS0_S3_S3_S3_fi,comdat
	.protected	_Z35generalAddBiasResidualPostLayerNormIfLi32EEvPT_PKS0_S3_S3_S3_fi ; -- Begin function _Z35generalAddBiasResidualPostLayerNormIfLi32EEvPT_PKS0_S3_S3_S3_fi
	.globl	_Z35generalAddBiasResidualPostLayerNormIfLi32EEvPT_PKS0_S3_S3_S3_fi
	.p2align	8
	.type	_Z35generalAddBiasResidualPostLayerNormIfLi32EEvPT_PKS0_S3_S3_S3_fi,@function
_Z35generalAddBiasResidualPostLayerNormIfLi32EEvPT_PKS0_S3_S3_S3_fi: ; @_Z35generalAddBiasResidualPostLayerNormIfLi32EEvPT_PKS0_S3_S3_S3_fi
; %bb.0:
	s_clause 0x2
	s_load_dwordx2 s[18:19], s[4:5], 0x28
	s_load_dwordx2 s[16:17], s[4:5], 0x0
	s_load_dwordx4 s[8:11], s[4:5], 0x18
	v_mov_b32_e32 v3, 0
	s_waitcnt lgkmcnt(0)
	s_lshr_b32 s0, s19, 31
	s_mul_i32 s6, s19, s6
	s_add_i32 s0, s19, s0
	s_ashr_i32 s7, s0, 1
	v_cmp_gt_i32_e64 s0, s7, v0
	s_and_saveexec_b32 s2, s0
	s_cbranch_execz .LBB7_4
; %bb.1:
	s_clause 0x1
	s_load_dwordx4 s[12:15], s[4:5], 0x8
	s_load_dword s1, s[4:5], 0x3c
	v_lshlrev_b32_e32 v1, 3, v0
	v_mov_b32_e32 v3, 0
	v_mov_b32_e32 v4, v0
	s_lshr_b32 s3, s6, 1
	s_waitcnt lgkmcnt(0)
	v_add_co_u32 v1, s14, s14, v1
	v_add_co_ci_u32_e64 v2, null, s15, 0, s14
	s_and_b32 s15, s1, 0xffff
	v_add_co_u32 v1, vcc_lo, v1, 4
	v_add_co_ci_u32_e64 v2, null, 0, v2, vcc_lo
	s_mov_b32 s14, 0
	s_lshl_b32 s20, s15, 3
	s_inst_prefetch 0x1
	.p2align	6
.LBB7_2:                                ; =>This Inner Loop Header: Depth=1
	v_add_nc_u32_e32 v5, s3, v4
	v_add_nc_u32_e32 v4, s15, v4
	v_ashrrev_i32_e32 v6, 31, v5
	v_cmp_le_i32_e64 s1, s7, v4
	v_lshlrev_b64 v[5:6], 3, v[5:6]
	s_or_b32 s14, s1, s14
	v_add_co_u32 v7, vcc_lo, s16, v5
	v_add_co_ci_u32_e64 v8, null, s17, v6, vcc_lo
	v_add_co_u32 v5, vcc_lo, s12, v5
	v_add_co_ci_u32_e64 v6, null, s13, v6, vcc_lo
	global_load_dwordx2 v[9:10], v[7:8], off
	global_load_dwordx2 v[5:6], v[5:6], off
	global_load_dwordx2 v[11:12], v[1:2], off offset:-4
	v_add_co_u32 v1, vcc_lo, v1, s20
	v_add_co_ci_u32_e64 v2, null, 0, v2, vcc_lo
	s_waitcnt vmcnt(1)
	v_add_f32_e32 v5, v9, v5
	v_add_f32_e32 v6, v10, v6
	s_waitcnt vmcnt(0)
	v_add_f32_e32 v5, v5, v11
	v_add_f32_e32 v6, v6, v12
	;; [unrolled: 1-line block ×3, first 2 shown]
	global_store_dwordx2 v[7:8], v[5:6], off
	v_add_f32_e32 v3, v3, v6
	s_andn2_b32 exec_lo, exec_lo, s14
	s_cbranch_execnz .LBB7_2
; %bb.3:
	s_inst_prefetch 0x2
	s_or_b32 exec_lo, exec_lo, s14
.LBB7_4:
	s_or_b32 exec_lo, exec_lo, s2
	v_mbcnt_lo_u32_b32 v5, -1, 0
	v_xor_b32_e32 v1, 16, v5
	v_xor_b32_e32 v2, 8, v5
	v_xor_b32_e32 v8, 1, v5
	v_cmp_gt_i32_e32 vcc_lo, 32, v1
	v_cndmask_b32_e32 v1, v5, v1, vcc_lo
	v_cmp_gt_i32_e32 vcc_lo, 32, v2
	v_lshlrev_b32_e32 v1, 2, v1
	v_cndmask_b32_e32 v2, v5, v2, vcc_lo
	ds_bpermute_b32 v4, v1, v3
	v_lshlrev_b32_e32 v2, 2, v2
	s_waitcnt lgkmcnt(0)
	v_add_f32_e32 v4, v3, v4
	v_xor_b32_e32 v3, 4, v5
	ds_bpermute_b32 v6, v2, v4
	v_cmp_gt_i32_e32 vcc_lo, 32, v3
	v_cndmask_b32_e32 v3, v5, v3, vcc_lo
	v_lshlrev_b32_e32 v3, 2, v3
	s_waitcnt lgkmcnt(0)
	v_add_f32_e32 v6, v4, v6
	v_xor_b32_e32 v4, 2, v5
	ds_bpermute_b32 v7, v3, v6
	v_cmp_gt_i32_e32 vcc_lo, 32, v4
	v_cndmask_b32_e32 v4, v5, v4, vcc_lo
	v_cmp_gt_i32_e32 vcc_lo, 32, v8
	v_lshlrev_b32_e32 v4, 2, v4
	v_cndmask_b32_e32 v5, v5, v8, vcc_lo
	v_lshlrev_b32_e32 v5, 2, v5
	s_waitcnt lgkmcnt(0)
	v_add_f32_e32 v6, v6, v7
	ds_bpermute_b32 v7, v4, v6
	s_waitcnt lgkmcnt(0)
	v_add_f32_e32 v8, v6, v7
	v_and_b32_e32 v6, 31, v0
	v_lshrrev_b32_e32 v7, 3, v0
	ds_bpermute_b32 v9, v5, v8
	v_cmp_eq_u32_e64 s1, 0, v6
	s_and_saveexec_b32 s2, s1
	s_cbranch_execz .LBB7_6
; %bb.5:
	s_waitcnt lgkmcnt(0)
	v_add_f32_e32 v8, v8, v9
	ds_write_b32 v7, v8
.LBB7_6:
	s_or_b32 exec_lo, exec_lo, s2
	s_waitcnt lgkmcnt(0)
	s_waitcnt_vscnt null, 0x0
	s_barrier
	buffer_gl0_inv
	s_load_dword s4, s[4:5], 0x3c
	v_mov_b32_e32 v9, 0
	v_lshlrev_b32_e32 v8, 2, v6
	s_waitcnt lgkmcnt(0)
	s_bfe_u32 s2, s4, 0xb0005
	v_cmp_gt_u32_e64 s2, s2, v0
	s_and_saveexec_b32 s3, s2
; %bb.7:
	ds_read_b32 v9, v8
; %bb.8:
	s_or_b32 exec_lo, exec_lo, s3
	s_waitcnt lgkmcnt(0)
	ds_bpermute_b32 v6, v1, v9
	v_cmp_eq_u32_e64 s3, 0, v0
	s_waitcnt lgkmcnt(0)
	v_add_f32_e32 v6, v9, v6
	ds_bpermute_b32 v9, v2, v6
	s_waitcnt lgkmcnt(0)
	v_add_f32_e32 v6, v6, v9
	ds_bpermute_b32 v9, v3, v6
	;; [unrolled: 3-line block ×3, first 2 shown]
	s_waitcnt lgkmcnt(0)
	v_add_f32_e32 v9, v6, v9
	v_cvt_f32_i32_e32 v6, s19
	ds_bpermute_b32 v10, v5, v9
	s_and_saveexec_b32 s5, s3
	s_cbranch_execz .LBB7_10
; %bb.9:
	s_waitcnt lgkmcnt(0)
	v_add_f32_e32 v9, v9, v10
	v_div_scale_f32 v10, null, v6, v6, v9
	v_div_scale_f32 v13, vcc_lo, v9, v6, v9
	v_rcp_f32_e32 v11, v10
	v_fma_f32 v12, -v10, v11, 1.0
	v_fmac_f32_e32 v11, v12, v11
	v_mul_f32_e32 v12, v13, v11
	v_fma_f32 v14, -v10, v12, v13
	v_fmac_f32_e32 v12, v14, v11
	v_fma_f32 v10, -v10, v12, v13
	v_div_fmas_f32 v10, v10, v11, v12
	v_div_fixup_f32 v9, v10, v6, v9
	v_mov_b32_e32 v10, 0
	ds_write_b32 v10, v9 offset:132
.LBB7_10:
	s_or_b32 exec_lo, exec_lo, s5
	v_mov_b32_e32 v9, 0
	s_and_b32 s4, 0xffff, s4
	s_waitcnt lgkmcnt(0)
	s_barrier
	buffer_gl0_inv
	s_and_saveexec_b32 s5, s0
	s_cbranch_execz .LBB7_14
; %bb.11:
	v_mov_b32_e32 v9, 0
	v_mov_b32_e32 v11, v0
	s_lshr_b32 s13, s6, 1
	s_mov_b32 s12, 0
	ds_read_b32 v10, v9 offset:132
	.p2align	6
.LBB7_12:                               ; =>This Inner Loop Header: Depth=1
	v_add_nc_u32_e32 v12, s13, v11
	v_add_nc_u32_e32 v11, s4, v11
	v_ashrrev_i32_e32 v13, 31, v12
	v_lshlrev_b64 v[12:13], 3, v[12:13]
	v_add_co_u32 v12, vcc_lo, s16, v12
	v_add_co_ci_u32_e64 v13, null, s17, v13, vcc_lo
	v_cmp_le_i32_e32 vcc_lo, s7, v11
	global_load_dwordx2 v[12:13], v[12:13], off
	s_or_b32 s12, vcc_lo, s12
	s_waitcnt vmcnt(0) lgkmcnt(0)
	v_sub_f32_e32 v12, v12, v10
	v_sub_f32_e32 v13, v13, v10
	v_fmac_f32_e32 v9, v12, v12
	v_fmac_f32_e32 v9, v13, v13
	s_andn2_b32 exec_lo, exec_lo, s12
	s_cbranch_execnz .LBB7_12
; %bb.13:
	s_or_b32 exec_lo, exec_lo, s12
.LBB7_14:
	s_or_b32 exec_lo, exec_lo, s5
	ds_bpermute_b32 v10, v1, v9
	s_waitcnt lgkmcnt(0)
	v_add_f32_e32 v9, v9, v10
	ds_bpermute_b32 v10, v2, v9
	s_waitcnt lgkmcnt(0)
	v_add_f32_e32 v9, v9, v10
	;; [unrolled: 3-line block ×4, first 2 shown]
	ds_bpermute_b32 v10, v5, v9
	s_and_saveexec_b32 s5, s1
	s_cbranch_execz .LBB7_16
; %bb.15:
	s_waitcnt lgkmcnt(0)
	v_add_f32_e32 v9, v9, v10
	ds_write_b32 v7, v9
.LBB7_16:
	s_or_b32 exec_lo, exec_lo, s5
	v_mov_b32_e32 v7, 0
	s_waitcnt lgkmcnt(0)
	s_barrier
	buffer_gl0_inv
	s_and_saveexec_b32 s1, s2
; %bb.17:
	ds_read_b32 v7, v8
; %bb.18:
	s_or_b32 exec_lo, exec_lo, s1
	s_waitcnt lgkmcnt(0)
	ds_bpermute_b32 v1, v1, v7
	s_waitcnt lgkmcnt(0)
	v_add_f32_e32 v1, v7, v1
	ds_bpermute_b32 v2, v2, v1
	s_waitcnt lgkmcnt(0)
	v_add_f32_e32 v1, v1, v2
	;; [unrolled: 3-line block ×4, first 2 shown]
	ds_bpermute_b32 v2, v5, v1
	s_and_saveexec_b32 s1, s3
	s_cbranch_execz .LBB7_20
; %bb.19:
	s_waitcnt lgkmcnt(0)
	v_add_f32_e32 v1, v1, v2
	v_div_scale_f32 v2, null, v6, v6, v1
	v_div_scale_f32 v5, vcc_lo, v1, v6, v1
	v_rcp_f32_e32 v3, v2
	v_fma_f32 v4, -v2, v3, 1.0
	v_fmac_f32_e32 v3, v4, v3
	v_mul_f32_e32 v4, v5, v3
	v_fma_f32 v7, -v2, v4, v5
	v_fmac_f32_e32 v4, v7, v3
	v_fma_f32 v2, -v2, v4, v5
	v_div_fmas_f32 v2, v2, v3, v4
	v_div_fixup_f32 v1, v2, v6, v1
	v_add_f32_e32 v1, s18, v1
	v_mul_f32_e32 v2, 0x4b800000, v1
	v_cmp_gt_f32_e32 vcc_lo, 0x800000, v1
	v_cndmask_b32_e32 v1, v1, v2, vcc_lo
	v_rsq_f32_e32 v1, v1
	v_mul_f32_e32 v2, 0x45800000, v1
	v_cndmask_b32_e32 v1, v1, v2, vcc_lo
	v_mov_b32_e32 v2, 0
	ds_write_b32 v2, v1 offset:128
.LBB7_20:
	s_or_b32 exec_lo, exec_lo, s1
	s_waitcnt lgkmcnt(0)
	s_barrier
	buffer_gl0_inv
	s_and_saveexec_b32 s1, s0
	s_cbranch_execz .LBB7_23
; %bb.21:
	v_mov_b32_e32 v3, 0
	v_lshl_or_b32 v4, v0, 3, 4
	s_lshr_b32 s1, s6, 1
	s_mov_b32 s2, 0
	s_lshl_b32 s3, s4, 3
	ds_read_b64 v[1:2], v3 offset:128
	s_inst_prefetch 0x1
	.p2align	6
.LBB7_22:                               ; =>This Inner Loop Header: Depth=1
	v_add_nc_u32_e32 v5, s1, v0
	v_add_co_u32 v7, vcc_lo, s8, v4
	v_add_co_ci_u32_e64 v8, null, s9, v3, vcc_lo
	v_ashrrev_i32_e32 v6, 31, v5
	v_add_co_u32 v11, vcc_lo, s10, v4
	v_add_co_ci_u32_e64 v12, null, s11, v3, vcc_lo
	v_lshlrev_b64 v[5:6], 3, v[5:6]
	v_add_nc_u32_e32 v0, s4, v0
	v_add_co_u32 v4, vcc_lo, v4, s3
	v_add_co_ci_u32_e64 v3, null, 0, v3, vcc_lo
	v_add_co_u32 v5, s0, s16, v5
	v_add_co_ci_u32_e64 v6, null, s17, v6, s0
	v_cmp_le_i32_e64 s0, s7, v0
	global_load_dwordx2 v[9:10], v[5:6], off
	global_load_dwordx2 v[7:8], v[7:8], off offset:-4
	global_load_dwordx2 v[11:12], v[11:12], off offset:-4
	s_or_b32 s2, s0, s2
	s_waitcnt vmcnt(2) lgkmcnt(0)
	v_sub_f32_e32 v9, v9, v2
	v_sub_f32_e32 v10, v10, v2
	v_mul_f32_e32 v9, v9, v1
	v_mul_f32_e32 v10, v10, v1
	s_waitcnt vmcnt(0)
	v_fma_f32 v11, v7, v9, v11
	v_fmac_f32_e32 v12, v8, v10
	global_store_dwordx2 v[5:6], v[11:12], off
	s_andn2_b32 exec_lo, exec_lo, s2
	s_cbranch_execnz .LBB7_22
.LBB7_23:
	s_inst_prefetch 0x2
	s_endpgm
	.section	.rodata,"a",@progbits
	.p2align	6, 0x0
	.amdhsa_kernel _Z35generalAddBiasResidualPostLayerNormIfLi32EEvPT_PKS0_S3_S3_S3_fi
		.amdhsa_group_segment_fixed_size 136
		.amdhsa_private_segment_fixed_size 0
		.amdhsa_kernarg_size 304
		.amdhsa_user_sgpr_count 6
		.amdhsa_user_sgpr_private_segment_buffer 1
		.amdhsa_user_sgpr_dispatch_ptr 0
		.amdhsa_user_sgpr_queue_ptr 0
		.amdhsa_user_sgpr_kernarg_segment_ptr 1
		.amdhsa_user_sgpr_dispatch_id 0
		.amdhsa_user_sgpr_flat_scratch_init 0
		.amdhsa_user_sgpr_private_segment_size 0
		.amdhsa_wavefront_size32 1
		.amdhsa_uses_dynamic_stack 0
		.amdhsa_system_sgpr_private_segment_wavefront_offset 0
		.amdhsa_system_sgpr_workgroup_id_x 1
		.amdhsa_system_sgpr_workgroup_id_y 0
		.amdhsa_system_sgpr_workgroup_id_z 0
		.amdhsa_system_sgpr_workgroup_info 0
		.amdhsa_system_vgpr_workitem_id 0
		.amdhsa_next_free_vgpr 15
		.amdhsa_next_free_sgpr 21
		.amdhsa_reserve_vcc 1
		.amdhsa_reserve_flat_scratch 0
		.amdhsa_float_round_mode_32 0
		.amdhsa_float_round_mode_16_64 0
		.amdhsa_float_denorm_mode_32 3
		.amdhsa_float_denorm_mode_16_64 3
		.amdhsa_dx10_clamp 1
		.amdhsa_ieee_mode 1
		.amdhsa_fp16_overflow 0
		.amdhsa_workgroup_processor_mode 1
		.amdhsa_memory_ordered 1
		.amdhsa_forward_progress 1
		.amdhsa_shared_vgpr_count 0
		.amdhsa_exception_fp_ieee_invalid_op 0
		.amdhsa_exception_fp_denorm_src 0
		.amdhsa_exception_fp_ieee_div_zero 0
		.amdhsa_exception_fp_ieee_overflow 0
		.amdhsa_exception_fp_ieee_underflow 0
		.amdhsa_exception_fp_ieee_inexact 0
		.amdhsa_exception_int_div_zero 0
	.end_amdhsa_kernel
	.section	.text._Z35generalAddBiasResidualPostLayerNormIfLi32EEvPT_PKS0_S3_S3_S3_fi,"axG",@progbits,_Z35generalAddBiasResidualPostLayerNormIfLi32EEvPT_PKS0_S3_S3_S3_fi,comdat
.Lfunc_end7:
	.size	_Z35generalAddBiasResidualPostLayerNormIfLi32EEvPT_PKS0_S3_S3_S3_fi, .Lfunc_end7-_Z35generalAddBiasResidualPostLayerNormIfLi32EEvPT_PKS0_S3_S3_S3_fi
                                        ; -- End function
	.set _Z35generalAddBiasResidualPostLayerNormIfLi32EEvPT_PKS0_S3_S3_S3_fi.num_vgpr, 15
	.set _Z35generalAddBiasResidualPostLayerNormIfLi32EEvPT_PKS0_S3_S3_S3_fi.num_agpr, 0
	.set _Z35generalAddBiasResidualPostLayerNormIfLi32EEvPT_PKS0_S3_S3_S3_fi.numbered_sgpr, 21
	.set _Z35generalAddBiasResidualPostLayerNormIfLi32EEvPT_PKS0_S3_S3_S3_fi.num_named_barrier, 0
	.set _Z35generalAddBiasResidualPostLayerNormIfLi32EEvPT_PKS0_S3_S3_S3_fi.private_seg_size, 0
	.set _Z35generalAddBiasResidualPostLayerNormIfLi32EEvPT_PKS0_S3_S3_S3_fi.uses_vcc, 1
	.set _Z35generalAddBiasResidualPostLayerNormIfLi32EEvPT_PKS0_S3_S3_S3_fi.uses_flat_scratch, 0
	.set _Z35generalAddBiasResidualPostLayerNormIfLi32EEvPT_PKS0_S3_S3_S3_fi.has_dyn_sized_stack, 0
	.set _Z35generalAddBiasResidualPostLayerNormIfLi32EEvPT_PKS0_S3_S3_S3_fi.has_recursion, 0
	.set _Z35generalAddBiasResidualPostLayerNormIfLi32EEvPT_PKS0_S3_S3_S3_fi.has_indirect_call, 0
	.section	.AMDGPU.csdata,"",@progbits
; Kernel info:
; codeLenInByte = 1588
; TotalNumSgprs: 23
; NumVgprs: 15
; ScratchSize: 0
; MemoryBound: 0
; FloatMode: 240
; IeeeMode: 1
; LDSByteSize: 136 bytes/workgroup (compile time only)
; SGPRBlocks: 0
; VGPRBlocks: 1
; NumSGPRsForWavesPerEU: 23
; NumVGPRsForWavesPerEU: 15
; Occupancy: 16
; WaveLimiterHint : 0
; COMPUTE_PGM_RSRC2:SCRATCH_EN: 0
; COMPUTE_PGM_RSRC2:USER_SGPR: 6
; COMPUTE_PGM_RSRC2:TRAP_HANDLER: 0
; COMPUTE_PGM_RSRC2:TGID_X_EN: 1
; COMPUTE_PGM_RSRC2:TGID_Y_EN: 0
; COMPUTE_PGM_RSRC2:TGID_Z_EN: 0
; COMPUTE_PGM_RSRC2:TIDIG_COMP_CNT: 0
	.section	.text._Z30addBiasResidualPostLayerNormV2I6__halfLi64EEvPT_PKS1_S4_S4_S4_fi,"axG",@progbits,_Z30addBiasResidualPostLayerNormV2I6__halfLi64EEvPT_PKS1_S4_S4_S4_fi,comdat
	.protected	_Z30addBiasResidualPostLayerNormV2I6__halfLi64EEvPT_PKS1_S4_S4_S4_fi ; -- Begin function _Z30addBiasResidualPostLayerNormV2I6__halfLi64EEvPT_PKS1_S4_S4_S4_fi
	.globl	_Z30addBiasResidualPostLayerNormV2I6__halfLi64EEvPT_PKS1_S4_S4_S4_fi
	.p2align	8
	.type	_Z30addBiasResidualPostLayerNormV2I6__halfLi64EEvPT_PKS1_S4_S4_S4_fi,@function
_Z30addBiasResidualPostLayerNormV2I6__halfLi64EEvPT_PKS1_S4_S4_S4_fi: ; @_Z30addBiasResidualPostLayerNormV2I6__halfLi64EEvPT_PKS1_S4_S4_S4_fi
; %bb.0:
	s_clause 0x2
	s_load_dwordx2 s[12:13], s[4:5], 0x28
	s_load_dword s7, s[4:5], 0x3c
	s_load_dwordx2 s[0:1], s[4:5], 0x10
	s_add_u32 s2, s4, 48
	s_addc_u32 s3, s5, 0
	s_load_dwordx4 s[8:11], s[4:5], 0x0
	v_lshlrev_b32_e32 v4, 2, v0
	s_waitcnt lgkmcnt(0)
	s_mul_i32 s6, s13, s6
	s_and_b32 s7, s7, 0xffff
	s_lshr_b32 s14, s6, 31
	global_load_dword v16, v4, s[0:1]
	s_add_i32 s6, s6, s14
	s_ashr_i32 s6, s6, 1
	v_add_nc_u32_e32 v1, s6, v0
	v_add_co_u32 v3, s6, s0, v4
	v_add_co_ci_u32_e64 v6, null, s1, 0, s6
	v_add_nc_u32_e32 v5, s7, v1
	s_lshl_b32 s6, s7, 2
	v_ashrrev_i32_e32 v2, 31, v1
	v_add_co_u32 v7, vcc_lo, v3, s6
	v_add_co_ci_u32_e64 v8, null, 0, v6, vcc_lo
	v_ashrrev_i32_e32 v6, 31, v5
	v_lshlrev_b64 v[11:12], 2, v[1:2]
	v_add_nc_u32_e32 v9, s7, v5
	global_load_dword v17, v[7:8], off
	v_lshlrev_b64 v[5:6], 2, v[5:6]
	v_add_co_u32 v2, vcc_lo, s8, v11
	v_add_co_ci_u32_e64 v3, null, s9, v12, vcc_lo
	v_add_co_u32 v11, vcc_lo, s10, v11
	v_ashrrev_i32_e32 v10, 31, v9
	v_add_co_ci_u32_e64 v12, null, s11, v12, vcc_lo
	v_add_co_u32 v14, vcc_lo, s8, v5
	v_add_nc_u32_e32 v13, s7, v9
	v_add_co_ci_u32_e64 v15, null, s9, v6, vcc_lo
	v_add_co_u32 v5, vcc_lo, s10, v5
	v_add_co_ci_u32_e64 v6, null, s11, v6, vcc_lo
	v_lshlrev_b64 v[9:10], 2, v[9:10]
	global_load_dword v18, v[2:3], off
	global_load_dword v19, v[11:12], off
	;; [unrolled: 1-line block ×4, first 2 shown]
	v_ashrrev_i32_e32 v14, 31, v13
	v_add_co_u32 v5, vcc_lo, s8, v9
	v_lshlrev_b64 v[11:12], 2, v[13:14]
	v_add_co_ci_u32_e64 v6, null, s9, v10, vcc_lo
	v_add_co_u32 v9, vcc_lo, s10, v9
	v_add_co_ci_u32_e64 v10, null, s11, v10, vcc_lo
	v_add_co_u32 v7, vcc_lo, v7, s6
	;; [unrolled: 2-line block ×4, first 2 shown]
	v_add_co_ci_u32_e64 v12, null, s11, v12, vcc_lo
	global_load_dword v21, v[5:6], off
	global_load_dword v9, v[9:10], off
	;; [unrolled: 1-line block ×5, first 2 shown]
	v_add_co_u32 v5, vcc_lo, v7, s6
	v_add_co_ci_u32_e64 v6, null, 0, v8, vcc_lo
	global_load_dword v7, v[5:6], off
	s_waitcnt vmcnt(8)
	v_pk_add_f16 v5, v18, v19
	v_pk_add_f16 v14, v5, v16
	s_waitcnt vmcnt(6)
	v_pk_add_f16 v5, v15, v20
	v_pk_add_f16 v6, v14, 0
	;; [unrolled: 1-line block ×3, first 2 shown]
	s_waitcnt vmcnt(4)
	v_pk_add_f16 v8, v21, v9
	v_pk_add_f16 v9, v6, v5
	s_waitcnt vmcnt(3)
	v_pk_add_f16 v6, v8, v10
	s_waitcnt vmcnt(1)
	v_pk_add_f16 v8, v13, v11
	v_mbcnt_lo_u32_b32 v13, -1, 0
	v_pk_add_f16 v9, v9, v6
	s_waitcnt vmcnt(0)
	v_pk_add_f16 v7, v8, v7
	v_or_b32_e32 v8, 32, v13
	v_xor_b32_e32 v17, 1, v13
	v_pk_add_f16 v9, v9, v7
	v_cmp_gt_i32_e32 vcc_lo, 64, v8
	v_add_f16_sdwa v9, v9, v9 dst_sel:DWORD dst_unused:UNUSED_PAD src0_sel:DWORD src1_sel:WORD_1
	v_cndmask_b32_e32 v8, v13, v8, vcc_lo
	v_cvt_f32_f16_e32 v10, v9
	v_lshlrev_b32_e32 v8, 2, v8
	v_xor_b32_e32 v9, 16, v13
	ds_bpermute_b32 v11, v8, v10
	v_cmp_gt_i32_e32 vcc_lo, 64, v9
	v_cndmask_b32_e32 v9, v13, v9, vcc_lo
	v_lshlrev_b32_e32 v9, 2, v9
	s_waitcnt lgkmcnt(0)
	v_add_f32_e32 v11, v10, v11
	v_xor_b32_e32 v10, 8, v13
	ds_bpermute_b32 v12, v9, v11
	v_cmp_gt_i32_e32 vcc_lo, 64, v10
	v_cndmask_b32_e32 v10, v13, v10, vcc_lo
	v_lshlrev_b32_e32 v10, 2, v10
	s_waitcnt lgkmcnt(0)
	v_add_f32_e32 v12, v11, v12
	;; [unrolled: 7-line block ×3, first 2 shown]
	v_xor_b32_e32 v12, 2, v13
	ds_bpermute_b32 v16, v11, v15
	v_cmp_gt_i32_e32 vcc_lo, 64, v12
	v_cndmask_b32_e32 v12, v13, v12, vcc_lo
	v_cmp_gt_i32_e32 vcc_lo, 64, v17
	v_lshlrev_b32_e32 v12, 2, v12
	v_cndmask_b32_e32 v13, v13, v17, vcc_lo
	v_and_b32_e32 v17, 63, v0
	v_lshlrev_b32_e32 v13, 2, v13
	v_cmp_eq_u32_e64 s0, 0, v17
	s_waitcnt lgkmcnt(0)
	v_add_f32_e32 v15, v15, v16
	ds_bpermute_b32 v16, v12, v15
	s_waitcnt lgkmcnt(0)
	v_add_f32_e32 v18, v15, v16
	v_mov_b32_e32 v15, 0
	v_lshrrev_b32_e32 v16, 4, v0
	ds_bpermute_b32 v19, v13, v18
	s_and_saveexec_b32 s1, s0
	s_cbranch_execz .LBB8_2
; %bb.1:
	s_waitcnt lgkmcnt(0)
	v_add_f32_e32 v18, v18, v19
	ds_write_b32 v16, v18
.LBB8_2:
	s_or_b32 exec_lo, exec_lo, s1
	s_waitcnt lgkmcnt(0)
	s_barrier
	buffer_gl0_inv
	s_load_dword s3, s[2:3], 0xc
	v_lshlrev_b32_e32 v17, 2, v17
	s_waitcnt lgkmcnt(0)
	s_bfe_u32 s1, s3, 0xa0006
	v_cmp_gt_u32_e64 s1, s1, v0
	s_and_saveexec_b32 s2, s1
; %bb.3:
	ds_read_b32 v15, v17
; %bb.4:
	s_or_b32 exec_lo, exec_lo, s2
	s_waitcnt lgkmcnt(0)
	ds_bpermute_b32 v18, v8, v15
	v_cmp_eq_u32_e64 s2, 0, v0
	s_waitcnt lgkmcnt(0)
	v_add_f32_e32 v15, v15, v18
	ds_bpermute_b32 v18, v9, v15
	s_waitcnt lgkmcnt(0)
	v_add_f32_e32 v15, v15, v18
	ds_bpermute_b32 v18, v10, v15
	;; [unrolled: 3-line block ×4, first 2 shown]
	s_waitcnt lgkmcnt(0)
	v_add_f32_e32 v18, v15, v18
	v_cvt_f32_i32_e32 v15, s13
	ds_bpermute_b32 v19, v13, v18
	s_and_saveexec_b32 s6, s2
	s_cbranch_execz .LBB8_6
; %bb.5:
	s_waitcnt lgkmcnt(0)
	v_add_f32_e32 v0, v18, v19
	v_div_scale_f32 v18, null, v15, v15, v0
	v_div_scale_f32 v21, vcc_lo, v0, v15, v0
	v_rcp_f32_e32 v19, v18
	v_fma_f32 v20, -v18, v19, 1.0
	v_fmac_f32_e32 v19, v20, v19
	v_mul_f32_e32 v20, v21, v19
	v_fma_f32 v22, -v18, v20, v21
	v_fmac_f32_e32 v20, v22, v19
	v_fma_f32 v18, -v18, v20, v21
	v_div_fmas_f32 v18, v18, v19, v20
	v_div_fixup_f32 v0, v18, v15, v0
	v_mov_b32_e32 v18, 0
	ds_write_b32 v18, v0 offset:68
.LBB8_6:
	s_or_b32 exec_lo, exec_lo, s6
	v_mov_b32_e32 v18, 0
	s_waitcnt lgkmcnt(0)
	s_barrier
	buffer_gl0_inv
	ds_read_b32 v0, v18 offset:68
	s_waitcnt lgkmcnt(0)
	v_cvt_f16_f32_e32 v19, v0
	v_pk_add_f16 v0, v14, v19 op_sel_hi:[1,0] neg_lo:[0,1] neg_hi:[0,1]
	v_pk_add_f16 v5, v5, v19 op_sel_hi:[1,0] neg_lo:[0,1] neg_hi:[0,1]
	;; [unrolled: 1-line block ×4, first 2 shown]
	v_cvt_f32_f16_sdwa v14, v0 dst_sel:DWORD dst_unused:UNUSED_PAD src0_sel:WORD_1
	v_cvt_f32_f16_sdwa v20, v5 dst_sel:DWORD dst_unused:UNUSED_PAD src0_sel:WORD_1
	v_cvt_f32_f16_sdwa v21, v6 dst_sel:DWORD dst_unused:UNUSED_PAD src0_sel:WORD_1
	v_mul_f32_e32 v14, v14, v14
	v_mul_f32_e32 v20, v20, v20
	v_mul_f32_e32 v19, v21, v21
	v_cvt_f32_f16_sdwa v21, v7 dst_sel:DWORD dst_unused:UNUSED_PAD src0_sel:WORD_1
	v_fma_mix_f32 v14, v0, v0, v14 op_sel_hi:[1,1,0]
	v_fma_mix_f32 v20, v5, v5, v20 op_sel_hi:[1,1,0]
	;; [unrolled: 1-line block ×3, first 2 shown]
	v_add_f32_e32 v14, v14, v20
	v_mul_f32_e32 v20, v21, v21
	v_add_f32_e32 v14, v14, v19
	v_fma_mix_f32 v19, v7, v7, v20 op_sel_hi:[1,1,0]
	v_add_f32_e32 v14, v14, v19
	ds_bpermute_b32 v19, v8, v14
	s_waitcnt lgkmcnt(0)
	v_add_f32_e32 v14, v14, v19
	ds_bpermute_b32 v19, v9, v14
	s_waitcnt lgkmcnt(0)
	v_add_f32_e32 v14, v14, v19
	ds_bpermute_b32 v19, v10, v14
	s_waitcnt lgkmcnt(0)
	v_add_f32_e32 v14, v14, v19
	ds_bpermute_b32 v19, v11, v14
	s_waitcnt lgkmcnt(0)
	v_add_f32_e32 v14, v14, v19
	ds_bpermute_b32 v19, v12, v14
	s_waitcnt lgkmcnt(0)
	v_add_f32_e32 v14, v14, v19
	ds_bpermute_b32 v19, v13, v14
	s_and_saveexec_b32 s6, s0
	s_cbranch_execz .LBB8_8
; %bb.7:
	s_waitcnt lgkmcnt(0)
	v_add_f32_e32 v14, v14, v19
	ds_write_b32 v16, v14
.LBB8_8:
	s_or_b32 exec_lo, exec_lo, s6
	s_load_dwordx4 s[4:7], s[4:5], 0x18
	s_waitcnt lgkmcnt(0)
	s_barrier
	buffer_gl0_inv
	s_and_saveexec_b32 s0, s1
; %bb.9:
	ds_read_b32 v18, v17
; %bb.10:
	s_or_b32 exec_lo, exec_lo, s0
	s_waitcnt lgkmcnt(0)
	ds_bpermute_b32 v8, v8, v18
	s_waitcnt lgkmcnt(0)
	v_add_f32_e32 v8, v18, v8
	ds_bpermute_b32 v9, v9, v8
	s_waitcnt lgkmcnt(0)
	v_add_f32_e32 v8, v8, v9
	;; [unrolled: 3-line block ×5, first 2 shown]
	ds_bpermute_b32 v9, v13, v8
	s_and_saveexec_b32 s0, s2
	s_cbranch_execz .LBB8_12
; %bb.11:
	s_waitcnt lgkmcnt(0)
	v_add_f32_e32 v8, v8, v9
	v_div_scale_f32 v9, null, v15, v15, v8
	v_div_scale_f32 v12, vcc_lo, v8, v15, v8
	v_rcp_f32_e32 v10, v9
	v_fma_f32 v11, -v9, v10, 1.0
	v_fmac_f32_e32 v10, v11, v10
	v_mul_f32_e32 v11, v12, v10
	v_fma_f32 v13, -v9, v11, v12
	v_fmac_f32_e32 v11, v13, v10
	v_fma_f32 v9, -v9, v11, v12
	v_div_fmas_f32 v9, v9, v10, v11
	v_div_fixup_f32 v8, v9, v15, v8
	v_add_f32_e32 v8, s12, v8
	v_mul_f32_e32 v9, 0x4b800000, v8
	v_cmp_gt_f32_e32 vcc_lo, 0x800000, v8
	v_cndmask_b32_e32 v8, v8, v9, vcc_lo
	v_rsq_f32_e32 v8, v8
	v_mul_f32_e32 v9, 0x45800000, v8
	v_cndmask_b32_e32 v8, v8, v9, vcc_lo
	v_mov_b32_e32 v9, 0
	ds_write_b32 v9, v8 offset:64
.LBB8_12:
	s_or_b32 exec_lo, exec_lo, s0
	v_add_co_u32 v8, s1, s4, v4
	s_and_b32 s0, 0xffff, s3
	s_waitcnt lgkmcnt(0)
	v_add_co_ci_u32_e64 v9, null, s5, 0, s1
	v_add_co_u32 v10, s2, s6, v4
	s_lshl_b32 s1, s0, 2
	v_add_co_ci_u32_e64 v11, null, s7, 0, s2
	v_add_co_u32 v8, vcc_lo, v8, s1
	v_add_co_ci_u32_e64 v9, null, 0, v9, vcc_lo
	v_add_co_u32 v10, vcc_lo, v10, s1
	v_add_co_ci_u32_e64 v11, null, 0, v11, vcc_lo
	s_barrier
	buffer_gl0_inv
	s_clause 0x1
	global_load_dword v18, v4, s[4:5]
	global_load_dword v4, v4, s[6:7]
	global_load_dword v19, v[8:9], off
	v_add_co_u32 v8, vcc_lo, v8, s1
	v_add_co_ci_u32_e64 v9, null, 0, v9, vcc_lo
	v_add_co_u32 v12, vcc_lo, v10, s1
	v_add_co_ci_u32_e64 v13, null, 0, v11, vcc_lo
	;; [unrolled: 2-line block ×4, first 2 shown]
	global_load_dword v20, v[10:11], off
	global_load_dword v21, v[8:9], off
	;; [unrolled: 1-line block ×5, first 2 shown]
	v_mov_b32_e32 v8, 0
	ds_read_b32 v16, v8 offset:64
	v_add_nc_u32_e32 v8, s0, v1
	v_add_nc_u32_e32 v10, s0, v8
	v_ashrrev_i32_e32 v9, 31, v8
	v_add_nc_u32_e32 v12, s0, v10
	v_ashrrev_i32_e32 v11, 31, v10
	v_lshlrev_b64 v[8:9], 2, v[8:9]
	v_ashrrev_i32_e32 v13, 31, v12
	v_lshlrev_b64 v[10:11], 2, v[10:11]
	v_add_co_u32 v8, vcc_lo, s8, v8
	s_waitcnt lgkmcnt(0)
	v_cvt_f16_f32_e32 v1, v16
	v_lshlrev_b64 v[12:13], 2, v[12:13]
	v_add_co_ci_u32_e64 v9, null, s9, v9, vcc_lo
	v_pk_mul_f16 v16, v1, v0 op_sel_hi:[0,1]
	v_pk_mul_f16 v5, v1, v5 op_sel_hi:[0,1]
	;; [unrolled: 1-line block ×4, first 2 shown]
	v_add_co_u32 v0, vcc_lo, s8, v10
	v_add_co_ci_u32_e64 v1, null, s9, v11, vcc_lo
	s_waitcnt vmcnt(6)
	v_pk_fma_f16 v10, v16, v18, v4
	v_add_co_u32 v4, vcc_lo, s8, v12
	s_waitcnt vmcnt(4)
	v_pk_fma_f16 v11, v5, v19, v20
	v_add_co_ci_u32_e64 v5, null, s9, v13, vcc_lo
	s_waitcnt vmcnt(2)
	v_pk_fma_f16 v6, v6, v21, v22
	s_waitcnt vmcnt(0)
	v_pk_fma_f16 v7, v7, v14, v15
	global_store_dword v[2:3], v10, off
	global_store_dword v[8:9], v11, off
	;; [unrolled: 1-line block ×4, first 2 shown]
	s_endpgm
	.section	.rodata,"a",@progbits
	.p2align	6, 0x0
	.amdhsa_kernel _Z30addBiasResidualPostLayerNormV2I6__halfLi64EEvPT_PKS1_S4_S4_S4_fi
		.amdhsa_group_segment_fixed_size 72
		.amdhsa_private_segment_fixed_size 0
		.amdhsa_kernarg_size 304
		.amdhsa_user_sgpr_count 6
		.amdhsa_user_sgpr_private_segment_buffer 1
		.amdhsa_user_sgpr_dispatch_ptr 0
		.amdhsa_user_sgpr_queue_ptr 0
		.amdhsa_user_sgpr_kernarg_segment_ptr 1
		.amdhsa_user_sgpr_dispatch_id 0
		.amdhsa_user_sgpr_flat_scratch_init 0
		.amdhsa_user_sgpr_private_segment_size 0
		.amdhsa_wavefront_size32 1
		.amdhsa_uses_dynamic_stack 0
		.amdhsa_system_sgpr_private_segment_wavefront_offset 0
		.amdhsa_system_sgpr_workgroup_id_x 1
		.amdhsa_system_sgpr_workgroup_id_y 0
		.amdhsa_system_sgpr_workgroup_id_z 0
		.amdhsa_system_sgpr_workgroup_info 0
		.amdhsa_system_vgpr_workitem_id 0
		.amdhsa_next_free_vgpr 23
		.amdhsa_next_free_sgpr 15
		.amdhsa_reserve_vcc 1
		.amdhsa_reserve_flat_scratch 0
		.amdhsa_float_round_mode_32 0
		.amdhsa_float_round_mode_16_64 0
		.amdhsa_float_denorm_mode_32 3
		.amdhsa_float_denorm_mode_16_64 3
		.amdhsa_dx10_clamp 1
		.amdhsa_ieee_mode 1
		.amdhsa_fp16_overflow 0
		.amdhsa_workgroup_processor_mode 1
		.amdhsa_memory_ordered 1
		.amdhsa_forward_progress 1
		.amdhsa_shared_vgpr_count 0
		.amdhsa_exception_fp_ieee_invalid_op 0
		.amdhsa_exception_fp_denorm_src 0
		.amdhsa_exception_fp_ieee_div_zero 0
		.amdhsa_exception_fp_ieee_overflow 0
		.amdhsa_exception_fp_ieee_underflow 0
		.amdhsa_exception_fp_ieee_inexact 0
		.amdhsa_exception_int_div_zero 0
	.end_amdhsa_kernel
	.section	.text._Z30addBiasResidualPostLayerNormV2I6__halfLi64EEvPT_PKS1_S4_S4_S4_fi,"axG",@progbits,_Z30addBiasResidualPostLayerNormV2I6__halfLi64EEvPT_PKS1_S4_S4_S4_fi,comdat
.Lfunc_end8:
	.size	_Z30addBiasResidualPostLayerNormV2I6__halfLi64EEvPT_PKS1_S4_S4_S4_fi, .Lfunc_end8-_Z30addBiasResidualPostLayerNormV2I6__halfLi64EEvPT_PKS1_S4_S4_S4_fi
                                        ; -- End function
	.set _Z30addBiasResidualPostLayerNormV2I6__halfLi64EEvPT_PKS1_S4_S4_S4_fi.num_vgpr, 23
	.set _Z30addBiasResidualPostLayerNormV2I6__halfLi64EEvPT_PKS1_S4_S4_S4_fi.num_agpr, 0
	.set _Z30addBiasResidualPostLayerNormV2I6__halfLi64EEvPT_PKS1_S4_S4_S4_fi.numbered_sgpr, 15
	.set _Z30addBiasResidualPostLayerNormV2I6__halfLi64EEvPT_PKS1_S4_S4_S4_fi.num_named_barrier, 0
	.set _Z30addBiasResidualPostLayerNormV2I6__halfLi64EEvPT_PKS1_S4_S4_S4_fi.private_seg_size, 0
	.set _Z30addBiasResidualPostLayerNormV2I6__halfLi64EEvPT_PKS1_S4_S4_S4_fi.uses_vcc, 1
	.set _Z30addBiasResidualPostLayerNormV2I6__halfLi64EEvPT_PKS1_S4_S4_S4_fi.uses_flat_scratch, 0
	.set _Z30addBiasResidualPostLayerNormV2I6__halfLi64EEvPT_PKS1_S4_S4_S4_fi.has_dyn_sized_stack, 0
	.set _Z30addBiasResidualPostLayerNormV2I6__halfLi64EEvPT_PKS1_S4_S4_S4_fi.has_recursion, 0
	.set _Z30addBiasResidualPostLayerNormV2I6__halfLi64EEvPT_PKS1_S4_S4_S4_fi.has_indirect_call, 0
	.section	.AMDGPU.csdata,"",@progbits
; Kernel info:
; codeLenInByte = 2084
; TotalNumSgprs: 17
; NumVgprs: 23
; ScratchSize: 0
; MemoryBound: 0
; FloatMode: 240
; IeeeMode: 1
; LDSByteSize: 72 bytes/workgroup (compile time only)
; SGPRBlocks: 0
; VGPRBlocks: 2
; NumSGPRsForWavesPerEU: 17
; NumVGPRsForWavesPerEU: 23
; Occupancy: 16
; WaveLimiterHint : 0
; COMPUTE_PGM_RSRC2:SCRATCH_EN: 0
; COMPUTE_PGM_RSRC2:USER_SGPR: 6
; COMPUTE_PGM_RSRC2:TRAP_HANDLER: 0
; COMPUTE_PGM_RSRC2:TGID_X_EN: 1
; COMPUTE_PGM_RSRC2:TGID_Y_EN: 0
; COMPUTE_PGM_RSRC2:TGID_Z_EN: 0
; COMPUTE_PGM_RSRC2:TIDIG_COMP_CNT: 0
	.section	.text._Z30addBiasResidualPostLayerNormV2I6__halfLi32EEvPT_PKS1_S4_S4_S4_fi,"axG",@progbits,_Z30addBiasResidualPostLayerNormV2I6__halfLi32EEvPT_PKS1_S4_S4_S4_fi,comdat
	.protected	_Z30addBiasResidualPostLayerNormV2I6__halfLi32EEvPT_PKS1_S4_S4_S4_fi ; -- Begin function _Z30addBiasResidualPostLayerNormV2I6__halfLi32EEvPT_PKS1_S4_S4_S4_fi
	.globl	_Z30addBiasResidualPostLayerNormV2I6__halfLi32EEvPT_PKS1_S4_S4_S4_fi
	.p2align	8
	.type	_Z30addBiasResidualPostLayerNormV2I6__halfLi32EEvPT_PKS1_S4_S4_S4_fi,@function
_Z30addBiasResidualPostLayerNormV2I6__halfLi32EEvPT_PKS1_S4_S4_S4_fi: ; @_Z30addBiasResidualPostLayerNormV2I6__halfLi32EEvPT_PKS1_S4_S4_S4_fi
; %bb.0:
	s_clause 0x3
	s_load_dwordx2 s[8:9], s[4:5], 0x28
	s_load_dword s7, s[4:5], 0x3c
	s_load_dwordx2 s[12:13], s[4:5], 0x10
	s_load_dwordx4 s[0:3], s[4:5], 0x0
	v_lshlrev_b32_e32 v9, 2, v0
	s_waitcnt lgkmcnt(0)
	s_mul_i32 s6, s9, s6
	s_lshr_b32 s10, s6, 31
	global_load_dword v18, v9, s[12:13]
	s_add_i32 s6, s6, s10
	s_ashr_i32 s10, s6, 1
	s_and_b32 s6, s7, 0xffff
	v_add_nc_u32_e32 v1, s10, v0
	v_add_co_u32 v4, s7, s12, v9
	v_add_co_ci_u32_e64 v5, null, s13, 0, s7
	v_add_nc_u32_e32 v3, s6, v1
	v_ashrrev_i32_e32 v2, 31, v1
	s_lshl_b32 s10, s6, 2
	v_add_co_u32 v7, vcc_lo, v4, s10
	v_ashrrev_i32_e32 v4, 31, v3
	v_add_co_ci_u32_e64 v8, null, 0, v5, vcc_lo
	v_add_nc_u32_e32 v5, s6, v3
	v_lshlrev_b64 v[10:11], 2, v[1:2]
	v_lshlrev_b64 v[12:13], 2, v[3:4]
	global_load_dword v19, v[7:8], off
	v_ashrrev_i32_e32 v6, 31, v5
	v_add_nc_u32_e32 v14, s6, v5
	v_add_co_u32 v1, vcc_lo, s0, v10
	v_add_co_ci_u32_e64 v2, null, s1, v11, vcc_lo
	v_add_co_u32 v10, vcc_lo, s2, v10
	v_add_co_ci_u32_e64 v11, null, s3, v11, vcc_lo
	v_add_co_u32 v3, vcc_lo, s0, v12
	v_lshlrev_b64 v[16:17], 2, v[5:6]
	v_ashrrev_i32_e32 v15, 31, v14
	v_add_co_ci_u32_e64 v4, null, s1, v13, vcc_lo
	v_add_co_u32 v12, vcc_lo, s2, v12
	v_add_co_ci_u32_e64 v13, null, s3, v13, vcc_lo
	global_load_dword v20, v[10:11], off
	s_clause 0x1
	global_load_dword v21, v[1:2], off
	global_load_dword v22, v[3:4], off
	;; [unrolled: 1-line block ×3, first 2 shown]
	v_add_co_u32 v5, vcc_lo, s0, v16
	v_lshlrev_b64 v[12:13], 2, v[14:15]
	v_add_co_ci_u32_e64 v6, null, s1, v17, vcc_lo
	v_add_co_u32 v10, vcc_lo, s2, v16
	v_add_co_ci_u32_e64 v11, null, s3, v17, vcc_lo
	v_add_co_u32 v14, vcc_lo, v7, s10
	;; [unrolled: 2-line block ×4, first 2 shown]
	v_add_co_ci_u32_e64 v13, null, s3, v13, vcc_lo
	global_load_dword v16, v[10:11], off
	global_load_dword v17, v[14:15], off
	s_clause 0x1
	global_load_dword v24, v[5:6], off
	global_load_dword v25, v[7:8], off
	;; [unrolled: 1-line block ×3, first 2 shown]
	v_add_co_u32 v10, vcc_lo, v14, s10
	v_add_co_ci_u32_e64 v11, null, 0, v15, vcc_lo
	global_load_dword v10, v[10:11], off
	s_waitcnt vmcnt(8)
	v_pk_add_f16 v11, v21, v20
	v_pk_add_f16 v18, v11, v18
	s_waitcnt vmcnt(6)
	v_pk_add_f16 v11, v22, v23
	v_pk_add_f16 v14, v18, 0
	;; [unrolled: 1-line block ×4, first 2 shown]
	s_waitcnt vmcnt(3)
	v_pk_add_f16 v11, v24, v16
	v_mbcnt_lo_u32_b32 v16, -1, 0
	v_pk_add_f16 v14, v11, v17
	s_waitcnt vmcnt(1)
	v_pk_add_f16 v11, v25, v13
	v_xor_b32_e32 v21, 1, v16
	v_pk_add_f16 v13, v15, v14
	s_waitcnt vmcnt(0)
	v_pk_add_f16 v17, v11, v10
	v_xor_b32_e32 v10, 16, v16
	v_pk_add_f16 v11, v13, v17
	v_cmp_gt_i32_e32 vcc_lo, 32, v10
	v_add_f16_sdwa v11, v11, v11 dst_sel:DWORD dst_unused:UNUSED_PAD src0_sel:DWORD src1_sel:WORD_1
	v_cndmask_b32_e32 v10, v16, v10, vcc_lo
	v_cvt_f32_f16_e32 v13, v11
	v_lshlrev_b32_e32 v10, 2, v10
	v_xor_b32_e32 v11, 8, v16
	ds_bpermute_b32 v15, v10, v13
	v_cmp_gt_i32_e32 vcc_lo, 32, v11
	v_cndmask_b32_e32 v11, v16, v11, vcc_lo
	v_lshlrev_b32_e32 v11, 2, v11
	s_waitcnt lgkmcnt(0)
	v_add_f32_e32 v15, v13, v15
	v_xor_b32_e32 v13, 4, v16
	ds_bpermute_b32 v19, v11, v15
	v_cmp_gt_i32_e32 vcc_lo, 32, v13
	v_cndmask_b32_e32 v13, v16, v13, vcc_lo
	v_lshlrev_b32_e32 v13, 2, v13
	s_waitcnt lgkmcnt(0)
	v_add_f32_e32 v19, v15, v19
	v_xor_b32_e32 v15, 2, v16
	ds_bpermute_b32 v20, v13, v19
	v_cmp_gt_i32_e32 vcc_lo, 32, v15
	v_cndmask_b32_e32 v15, v16, v15, vcc_lo
	v_cmp_gt_i32_e32 vcc_lo, 32, v21
	v_lshlrev_b32_e32 v15, 2, v15
	v_cndmask_b32_e32 v16, v16, v21, vcc_lo
	v_lshrrev_b32_e32 v21, 3, v0
	v_lshlrev_b32_e32 v16, 2, v16
	s_waitcnt lgkmcnt(0)
	v_add_f32_e32 v19, v19, v20
	ds_bpermute_b32 v20, v15, v19
	s_waitcnt lgkmcnt(0)
	v_add_f32_e32 v22, v19, v20
	v_and_b32_e32 v20, 31, v0
	v_mov_b32_e32 v19, 0
	ds_bpermute_b32 v23, v16, v22
	v_cmp_eq_u32_e64 s1, 0, v20
	s_and_saveexec_b32 s0, s1
	s_cbranch_execz .LBB9_2
; %bb.1:
	s_waitcnt lgkmcnt(0)
	v_add_f32_e32 v22, v22, v23
	ds_write_b32 v21, v22
.LBB9_2:
	s_or_b32 exec_lo, exec_lo, s0
	s_lshr_b32 s0, s6, 5
	v_lshlrev_b32_e32 v20, 2, v20
	v_cmp_gt_u32_e64 s0, s0, v0
	s_waitcnt lgkmcnt(0)
	s_barrier
	buffer_gl0_inv
	s_and_saveexec_b32 s2, s0
; %bb.3:
	ds_read_b32 v19, v20
; %bb.4:
	s_or_b32 exec_lo, exec_lo, s2
	s_waitcnt lgkmcnt(0)
	ds_bpermute_b32 v22, v10, v19
	v_cmp_eq_u32_e64 s2, 0, v0
	s_waitcnt lgkmcnt(0)
	v_add_f32_e32 v19, v19, v22
	ds_bpermute_b32 v22, v11, v19
	s_waitcnt lgkmcnt(0)
	v_add_f32_e32 v19, v19, v22
	ds_bpermute_b32 v22, v13, v19
	;; [unrolled: 3-line block ×3, first 2 shown]
	s_waitcnt lgkmcnt(0)
	v_add_f32_e32 v22, v19, v22
	v_cvt_f32_i32_e32 v19, s9
	ds_bpermute_b32 v23, v16, v22
	s_and_saveexec_b32 s3, s2
	s_cbranch_execz .LBB9_6
; %bb.5:
	s_waitcnt lgkmcnt(0)
	v_add_f32_e32 v0, v22, v23
	v_div_scale_f32 v22, null, v19, v19, v0
	v_div_scale_f32 v25, vcc_lo, v0, v19, v0
	v_rcp_f32_e32 v23, v22
	v_fma_f32 v24, -v22, v23, 1.0
	v_fmac_f32_e32 v23, v24, v23
	v_mul_f32_e32 v24, v25, v23
	v_fma_f32 v26, -v22, v24, v25
	v_fmac_f32_e32 v24, v26, v23
	v_fma_f32 v22, -v22, v24, v25
	v_div_fmas_f32 v22, v22, v23, v24
	v_div_fixup_f32 v0, v22, v19, v0
	v_mov_b32_e32 v22, 0
	ds_write_b32 v22, v0 offset:132
.LBB9_6:
	s_or_b32 exec_lo, exec_lo, s3
	v_mov_b32_e32 v22, 0
	s_waitcnt lgkmcnt(0)
	s_barrier
	buffer_gl0_inv
	ds_read_b32 v0, v22 offset:132
	s_waitcnt lgkmcnt(0)
	v_cvt_f16_f32_e32 v23, v0
	v_pk_add_f16 v0, v18, v23 op_sel_hi:[1,0] neg_lo:[0,1] neg_hi:[0,1]
	v_pk_add_f16 v12, v12, v23 op_sel_hi:[1,0] neg_lo:[0,1] neg_hi:[0,1]
	;; [unrolled: 1-line block ×4, first 2 shown]
	v_cvt_f32_f16_sdwa v18, v0 dst_sel:DWORD dst_unused:UNUSED_PAD src0_sel:WORD_1
	v_cvt_f32_f16_sdwa v24, v12 dst_sel:DWORD dst_unused:UNUSED_PAD src0_sel:WORD_1
	;; [unrolled: 1-line block ×3, first 2 shown]
	v_mul_f32_e32 v18, v18, v18
	v_mul_f32_e32 v24, v24, v24
	;; [unrolled: 1-line block ×3, first 2 shown]
	v_cvt_f32_f16_sdwa v25, v17 dst_sel:DWORD dst_unused:UNUSED_PAD src0_sel:WORD_1
	v_fma_mix_f32 v18, v0, v0, v18 op_sel_hi:[1,1,0]
	v_fma_mix_f32 v24, v12, v12, v24 op_sel_hi:[1,1,0]
	;; [unrolled: 1-line block ×3, first 2 shown]
	v_add_f32_e32 v18, v18, v24
	v_mul_f32_e32 v24, v25, v25
	v_add_f32_e32 v18, v18, v23
	v_fma_mix_f32 v23, v17, v17, v24 op_sel_hi:[1,1,0]
	v_add_f32_e32 v18, v18, v23
	ds_bpermute_b32 v23, v10, v18
	s_waitcnt lgkmcnt(0)
	v_add_f32_e32 v18, v18, v23
	ds_bpermute_b32 v23, v11, v18
	s_waitcnt lgkmcnt(0)
	;; [unrolled: 3-line block ×4, first 2 shown]
	v_add_f32_e32 v18, v18, v23
	ds_bpermute_b32 v23, v16, v18
	s_and_saveexec_b32 s3, s1
	s_cbranch_execz .LBB9_8
; %bb.7:
	s_waitcnt lgkmcnt(0)
	v_add_f32_e32 v18, v18, v23
	ds_write_b32 v21, v18
.LBB9_8:
	s_or_b32 exec_lo, exec_lo, s3
	s_load_dwordx4 s[4:7], s[4:5], 0x18
	s_waitcnt lgkmcnt(0)
	s_barrier
	buffer_gl0_inv
	s_and_saveexec_b32 s1, s0
; %bb.9:
	ds_read_b32 v22, v20
; %bb.10:
	s_or_b32 exec_lo, exec_lo, s1
	s_waitcnt lgkmcnt(0)
	ds_bpermute_b32 v10, v10, v22
	s_waitcnt lgkmcnt(0)
	v_add_f32_e32 v10, v22, v10
	ds_bpermute_b32 v11, v11, v10
	s_waitcnt lgkmcnt(0)
	v_add_f32_e32 v10, v10, v11
	;; [unrolled: 3-line block ×4, first 2 shown]
	ds_bpermute_b32 v11, v16, v10
	s_and_saveexec_b32 s0, s2
	s_cbranch_execz .LBB9_12
; %bb.11:
	s_waitcnt lgkmcnt(0)
	v_add_f32_e32 v10, v10, v11
	v_div_scale_f32 v11, null, v19, v19, v10
	v_div_scale_f32 v16, vcc_lo, v10, v19, v10
	v_rcp_f32_e32 v13, v11
	v_fma_f32 v15, -v11, v13, 1.0
	v_fmac_f32_e32 v13, v15, v13
	v_mul_f32_e32 v15, v16, v13
	v_fma_f32 v18, -v11, v15, v16
	v_fmac_f32_e32 v15, v18, v13
	v_fma_f32 v11, -v11, v15, v16
	v_div_fmas_f32 v11, v11, v13, v15
	v_div_fixup_f32 v10, v11, v19, v10
	v_add_f32_e32 v10, s8, v10
	v_mul_f32_e32 v11, 0x4b800000, v10
	v_cmp_gt_f32_e32 vcc_lo, 0x800000, v10
	v_cndmask_b32_e32 v10, v10, v11, vcc_lo
	v_rsq_f32_e32 v10, v10
	v_mul_f32_e32 v11, 0x45800000, v10
	v_cndmask_b32_e32 v10, v10, v11, vcc_lo
	v_mov_b32_e32 v11, 0
	ds_write_b32 v11, v10 offset:128
.LBB9_12:
	s_or_b32 exec_lo, exec_lo, s0
	v_add_co_u32 v10, s0, s4, v9
	s_waitcnt lgkmcnt(0)
	v_add_co_ci_u32_e64 v11, null, s5, 0, s0
	v_add_co_u32 v13, s0, s6, v9
	v_add_co_ci_u32_e64 v16, null, s7, 0, s0
	v_add_co_u32 v10, vcc_lo, v10, s10
	v_add_co_ci_u32_e64 v11, null, 0, v11, vcc_lo
	v_add_co_u32 v15, vcc_lo, v13, s10
	v_add_co_ci_u32_e64 v16, null, 0, v16, vcc_lo
	s_barrier
	buffer_gl0_inv
	s_clause 0x1
	global_load_dword v24, v9, s[4:5]
	global_load_dword v25, v9, s[6:7]
	global_load_dword v26, v[10:11], off
	v_add_co_u32 v9, vcc_lo, v10, s10
	v_add_co_ci_u32_e64 v10, null, 0, v11, vcc_lo
	v_add_co_u32 v18, vcc_lo, v15, s10
	v_add_co_ci_u32_e64 v19, null, 0, v16, vcc_lo
	;; [unrolled: 2-line block ×4, first 2 shown]
	global_load_dword v11, v[15:16], off
	global_load_dword v9, v[9:10], off
	;; [unrolled: 1-line block ×5, first 2 shown]
	v_mov_b32_e32 v16, 0
	ds_read_b32 v16, v16 offset:128
	s_waitcnt lgkmcnt(0)
	v_cvt_f16_f32_e32 v16, v16
	v_pk_mul_f16 v0, v16, v0 op_sel_hi:[0,1]
	v_pk_mul_f16 v12, v16, v12 op_sel_hi:[0,1]
	;; [unrolled: 1-line block ×4, first 2 shown]
	s_waitcnt vmcnt(6)
	v_pk_fma_f16 v0, v0, v24, v25
	s_waitcnt vmcnt(4)
	v_pk_fma_f16 v11, v12, v26, v11
	;; [unrolled: 2-line block ×4, first 2 shown]
	global_store_dword v[1:2], v0, off
	global_store_dword v[3:4], v11, off
	;; [unrolled: 1-line block ×4, first 2 shown]
	s_endpgm
	.section	.rodata,"a",@progbits
	.p2align	6, 0x0
	.amdhsa_kernel _Z30addBiasResidualPostLayerNormV2I6__halfLi32EEvPT_PKS1_S4_S4_S4_fi
		.amdhsa_group_segment_fixed_size 136
		.amdhsa_private_segment_fixed_size 0
		.amdhsa_kernarg_size 304
		.amdhsa_user_sgpr_count 6
		.amdhsa_user_sgpr_private_segment_buffer 1
		.amdhsa_user_sgpr_dispatch_ptr 0
		.amdhsa_user_sgpr_queue_ptr 0
		.amdhsa_user_sgpr_kernarg_segment_ptr 1
		.amdhsa_user_sgpr_dispatch_id 0
		.amdhsa_user_sgpr_flat_scratch_init 0
		.amdhsa_user_sgpr_private_segment_size 0
		.amdhsa_wavefront_size32 1
		.amdhsa_uses_dynamic_stack 0
		.amdhsa_system_sgpr_private_segment_wavefront_offset 0
		.amdhsa_system_sgpr_workgroup_id_x 1
		.amdhsa_system_sgpr_workgroup_id_y 0
		.amdhsa_system_sgpr_workgroup_id_z 0
		.amdhsa_system_sgpr_workgroup_info 0
		.amdhsa_system_vgpr_workitem_id 0
		.amdhsa_next_free_vgpr 27
		.amdhsa_next_free_sgpr 14
		.amdhsa_reserve_vcc 1
		.amdhsa_reserve_flat_scratch 0
		.amdhsa_float_round_mode_32 0
		.amdhsa_float_round_mode_16_64 0
		.amdhsa_float_denorm_mode_32 3
		.amdhsa_float_denorm_mode_16_64 3
		.amdhsa_dx10_clamp 1
		.amdhsa_ieee_mode 1
		.amdhsa_fp16_overflow 0
		.amdhsa_workgroup_processor_mode 1
		.amdhsa_memory_ordered 1
		.amdhsa_forward_progress 1
		.amdhsa_shared_vgpr_count 0
		.amdhsa_exception_fp_ieee_invalid_op 0
		.amdhsa_exception_fp_denorm_src 0
		.amdhsa_exception_fp_ieee_div_zero 0
		.amdhsa_exception_fp_ieee_overflow 0
		.amdhsa_exception_fp_ieee_underflow 0
		.amdhsa_exception_fp_ieee_inexact 0
		.amdhsa_exception_int_div_zero 0
	.end_amdhsa_kernel
	.section	.text._Z30addBiasResidualPostLayerNormV2I6__halfLi32EEvPT_PKS1_S4_S4_S4_fi,"axG",@progbits,_Z30addBiasResidualPostLayerNormV2I6__halfLi32EEvPT_PKS1_S4_S4_S4_fi,comdat
.Lfunc_end9:
	.size	_Z30addBiasResidualPostLayerNormV2I6__halfLi32EEvPT_PKS1_S4_S4_S4_fi, .Lfunc_end9-_Z30addBiasResidualPostLayerNormV2I6__halfLi32EEvPT_PKS1_S4_S4_S4_fi
                                        ; -- End function
	.set _Z30addBiasResidualPostLayerNormV2I6__halfLi32EEvPT_PKS1_S4_S4_S4_fi.num_vgpr, 27
	.set _Z30addBiasResidualPostLayerNormV2I6__halfLi32EEvPT_PKS1_S4_S4_S4_fi.num_agpr, 0
	.set _Z30addBiasResidualPostLayerNormV2I6__halfLi32EEvPT_PKS1_S4_S4_S4_fi.numbered_sgpr, 14
	.set _Z30addBiasResidualPostLayerNormV2I6__halfLi32EEvPT_PKS1_S4_S4_S4_fi.num_named_barrier, 0
	.set _Z30addBiasResidualPostLayerNormV2I6__halfLi32EEvPT_PKS1_S4_S4_S4_fi.private_seg_size, 0
	.set _Z30addBiasResidualPostLayerNormV2I6__halfLi32EEvPT_PKS1_S4_S4_S4_fi.uses_vcc, 1
	.set _Z30addBiasResidualPostLayerNormV2I6__halfLi32EEvPT_PKS1_S4_S4_S4_fi.uses_flat_scratch, 0
	.set _Z30addBiasResidualPostLayerNormV2I6__halfLi32EEvPT_PKS1_S4_S4_S4_fi.has_dyn_sized_stack, 0
	.set _Z30addBiasResidualPostLayerNormV2I6__halfLi32EEvPT_PKS1_S4_S4_S4_fi.has_recursion, 0
	.set _Z30addBiasResidualPostLayerNormV2I6__halfLi32EEvPT_PKS1_S4_S4_S4_fi.has_indirect_call, 0
	.section	.AMDGPU.csdata,"",@progbits
; Kernel info:
; codeLenInByte = 1876
; TotalNumSgprs: 16
; NumVgprs: 27
; ScratchSize: 0
; MemoryBound: 0
; FloatMode: 240
; IeeeMode: 1
; LDSByteSize: 136 bytes/workgroup (compile time only)
; SGPRBlocks: 0
; VGPRBlocks: 3
; NumSGPRsForWavesPerEU: 16
; NumVGPRsForWavesPerEU: 27
; Occupancy: 16
; WaveLimiterHint : 0
; COMPUTE_PGM_RSRC2:SCRATCH_EN: 0
; COMPUTE_PGM_RSRC2:USER_SGPR: 6
; COMPUTE_PGM_RSRC2:TRAP_HANDLER: 0
; COMPUTE_PGM_RSRC2:TGID_X_EN: 1
; COMPUTE_PGM_RSRC2:TGID_Y_EN: 0
; COMPUTE_PGM_RSRC2:TGID_Z_EN: 0
; COMPUTE_PGM_RSRC2:TIDIG_COMP_CNT: 0
	.section	.text._Z28addBiasResidualPostLayerNormI6__halfLi1ELi64EEvPT_PKS1_S4_S4_S4_fi,"axG",@progbits,_Z28addBiasResidualPostLayerNormI6__halfLi1ELi64EEvPT_PKS1_S4_S4_S4_fi,comdat
	.protected	_Z28addBiasResidualPostLayerNormI6__halfLi1ELi64EEvPT_PKS1_S4_S4_S4_fi ; -- Begin function _Z28addBiasResidualPostLayerNormI6__halfLi1ELi64EEvPT_PKS1_S4_S4_S4_fi
	.globl	_Z28addBiasResidualPostLayerNormI6__halfLi1ELi64EEvPT_PKS1_S4_S4_S4_fi
	.p2align	8
	.type	_Z28addBiasResidualPostLayerNormI6__halfLi1ELi64EEvPT_PKS1_S4_S4_S4_fi,@function
_Z28addBiasResidualPostLayerNormI6__halfLi1ELi64EEvPT_PKS1_S4_S4_S4_fi: ; @_Z28addBiasResidualPostLayerNormI6__halfLi1ELi64EEvPT_PKS1_S4_S4_S4_fi
; %bb.0:
	s_clause 0x1
	s_load_dwordx2 s[10:11], s[4:5], 0x28
	s_load_dwordx2 s[8:9], s[4:5], 0x0
	v_mov_b32_e32 v5, 0
	v_lshlrev_b32_e32 v1, 1, v0
                                        ; implicit-def: $vgpr2
	s_waitcnt lgkmcnt(0)
	v_cmp_gt_i32_e64 s0, s11, v0
	s_and_saveexec_b32 s1, s0
	s_cbranch_execz .LBB10_2
; %bb.1:
	s_load_dwordx4 s[12:15], s[4:5], 0x8
	v_mad_u64_u32 v[2:3], null, s11, s6, v[0:1]
	v_mov_b32_e32 v3, 0
	v_lshlrev_b64 v[2:3], 1, v[2:3]
	v_add_co_u32 v4, vcc_lo, s8, v2
	v_add_co_ci_u32_e64 v5, null, s9, v3, vcc_lo
	s_waitcnt lgkmcnt(0)
	v_add_co_u32 v2, vcc_lo, s12, v2
	v_add_co_ci_u32_e64 v3, null, s13, v3, vcc_lo
	global_load_ushort v4, v[4:5], off
	global_load_ushort v2, v[2:3], off
	global_load_ushort v3, v1, s[14:15]
	s_waitcnt vmcnt(1)
	v_add_f16_e32 v2, v4, v2
	s_waitcnt vmcnt(0)
	v_add_f16_e32 v2, v2, v3
	v_cvt_f32_f16_e32 v2, v2
	v_add_f32_e32 v5, 0, v2
.LBB10_2:
	s_or_b32 exec_lo, exec_lo, s1
	v_mbcnt_lo_u32_b32 v8, -1, 0
	v_or_b32_e32 v3, 32, v8
	v_xor_b32_e32 v4, 16, v8
	v_xor_b32_e32 v11, 1, v8
	v_cmp_gt_i32_e32 vcc_lo, 64, v3
	v_cndmask_b32_e32 v3, v8, v3, vcc_lo
	v_cmp_gt_i32_e32 vcc_lo, 64, v4
	v_lshlrev_b32_e32 v3, 2, v3
	v_cndmask_b32_e32 v4, v8, v4, vcc_lo
	ds_bpermute_b32 v6, v3, v5
	v_lshlrev_b32_e32 v4, 2, v4
	s_waitcnt lgkmcnt(0)
	v_add_f32_e32 v6, v5, v6
	v_xor_b32_e32 v5, 8, v8
	ds_bpermute_b32 v7, v4, v6
	v_cmp_gt_i32_e32 vcc_lo, 64, v5
	v_cndmask_b32_e32 v5, v8, v5, vcc_lo
	v_lshlrev_b32_e32 v5, 2, v5
	s_waitcnt lgkmcnt(0)
	v_add_f32_e32 v7, v6, v7
	v_xor_b32_e32 v6, 4, v8
	ds_bpermute_b32 v9, v5, v7
	v_cmp_gt_i32_e32 vcc_lo, 64, v6
	v_cndmask_b32_e32 v6, v8, v6, vcc_lo
	;; [unrolled: 7-line block ×3, first 2 shown]
	v_cmp_gt_i32_e32 vcc_lo, 64, v11
	v_lshlrev_b32_e32 v7, 2, v7
	v_cndmask_b32_e32 v8, v8, v11, vcc_lo
	v_lshlrev_b32_e32 v8, 2, v8
	s_waitcnt lgkmcnt(0)
	v_add_f32_e32 v9, v9, v10
	ds_bpermute_b32 v10, v7, v9
	s_waitcnt lgkmcnt(0)
	v_add_f32_e32 v11, v9, v10
	v_and_b32_e32 v9, 63, v0
	v_lshrrev_b32_e32 v10, 4, v0
	ds_bpermute_b32 v12, v8, v11
	v_cmp_eq_u32_e64 s1, 0, v9
	s_and_saveexec_b32 s2, s1
	s_cbranch_execz .LBB10_4
; %bb.3:
	s_waitcnt lgkmcnt(0)
	v_add_f32_e32 v11, v11, v12
	ds_write_b32 v10, v11
.LBB10_4:
	s_or_b32 exec_lo, exec_lo, s2
	s_waitcnt lgkmcnt(0)
	s_barrier
	buffer_gl0_inv
	s_load_dword s2, s[4:5], 0x3c
	v_mov_b32_e32 v12, 0
	v_lshlrev_b32_e32 v11, 2, v9
	s_waitcnt lgkmcnt(0)
	s_bfe_u32 s2, s2, 0xa0006
	v_cmp_gt_u32_e64 s2, s2, v0
	s_and_saveexec_b32 s3, s2
; %bb.5:
	ds_read_b32 v12, v11
; %bb.6:
	s_or_b32 exec_lo, exec_lo, s3
	s_waitcnt lgkmcnt(0)
	ds_bpermute_b32 v9, v3, v12
	v_cmp_eq_u32_e64 s3, 0, v0
	s_waitcnt lgkmcnt(0)
	v_add_f32_e32 v9, v12, v9
	ds_bpermute_b32 v12, v4, v9
	s_waitcnt lgkmcnt(0)
	v_add_f32_e32 v9, v9, v12
	ds_bpermute_b32 v12, v5, v9
	;; [unrolled: 3-line block ×4, first 2 shown]
	s_waitcnt lgkmcnt(0)
	v_add_f32_e32 v12, v9, v12
	v_cvt_f32_i32_e32 v9, s11
	ds_bpermute_b32 v13, v8, v12
	s_and_saveexec_b32 s7, s3
	s_cbranch_execz .LBB10_8
; %bb.7:
	s_waitcnt lgkmcnt(0)
	v_add_f32_e32 v12, v12, v13
	v_div_scale_f32 v13, null, v9, v9, v12
	v_div_scale_f32 v16, vcc_lo, v12, v9, v12
	v_rcp_f32_e32 v14, v13
	v_fma_f32 v15, -v13, v14, 1.0
	v_fmac_f32_e32 v14, v15, v14
	v_mul_f32_e32 v15, v16, v14
	v_fma_f32 v17, -v13, v15, v16
	v_fmac_f32_e32 v15, v17, v14
	v_fma_f32 v13, -v13, v15, v16
	v_div_fmas_f32 v13, v13, v14, v15
	v_div_fixup_f32 v12, v13, v9, v12
	v_mov_b32_e32 v13, 0
	ds_write_b32 v13, v12 offset:68
.LBB10_8:
	s_or_b32 exec_lo, exec_lo, s7
	v_mov_b32_e32 v12, 0
	s_waitcnt lgkmcnt(0)
	s_barrier
	buffer_gl0_inv
	ds_read_b32 v13, v12 offset:68
	s_waitcnt lgkmcnt(0)
	v_sub_f32_e32 v13, v2, v13
	v_mul_f32_e32 v13, v13, v13
	v_cndmask_b32_e64 v13, 0, v13, s0
	ds_bpermute_b32 v14, v3, v13
	s_waitcnt lgkmcnt(0)
	v_add_f32_e32 v13, v13, v14
	ds_bpermute_b32 v14, v4, v13
	s_waitcnt lgkmcnt(0)
	v_add_f32_e32 v13, v13, v14
	;; [unrolled: 3-line block ×5, first 2 shown]
	ds_bpermute_b32 v14, v8, v13
	s_and_saveexec_b32 s7, s1
	s_cbranch_execz .LBB10_10
; %bb.9:
	s_waitcnt lgkmcnt(0)
	v_add_f32_e32 v13, v13, v14
	ds_write_b32 v10, v13
.LBB10_10:
	s_or_b32 exec_lo, exec_lo, s7
	s_waitcnt lgkmcnt(0)
	s_barrier
	buffer_gl0_inv
	s_and_saveexec_b32 s1, s2
; %bb.11:
	ds_read_b32 v12, v11
; %bb.12:
	s_or_b32 exec_lo, exec_lo, s1
	s_waitcnt lgkmcnt(0)
	ds_bpermute_b32 v3, v3, v12
	s_waitcnt lgkmcnt(0)
	v_add_f32_e32 v3, v12, v3
	ds_bpermute_b32 v4, v4, v3
	s_waitcnt lgkmcnt(0)
	v_add_f32_e32 v3, v3, v4
	;; [unrolled: 3-line block ×5, first 2 shown]
	ds_bpermute_b32 v4, v8, v3
	s_and_saveexec_b32 s1, s3
	s_cbranch_execz .LBB10_14
; %bb.13:
	s_waitcnt lgkmcnt(0)
	v_add_f32_e32 v3, v3, v4
	v_div_scale_f32 v4, null, v9, v9, v3
	v_div_scale_f32 v7, vcc_lo, v3, v9, v3
	v_rcp_f32_e32 v5, v4
	v_fma_f32 v6, -v4, v5, 1.0
	v_fmac_f32_e32 v5, v6, v5
	v_mul_f32_e32 v6, v7, v5
	v_fma_f32 v8, -v4, v6, v7
	v_fmac_f32_e32 v6, v8, v5
	v_fma_f32 v4, -v4, v6, v7
	v_div_fmas_f32 v4, v4, v5, v6
	v_div_fixup_f32 v3, v4, v9, v3
	v_mov_b32_e32 v4, 0
	v_add_f32_e32 v3, s10, v3
	ds_write_b32 v4, v3 offset:64
.LBB10_14:
	s_or_b32 exec_lo, exec_lo, s1
	s_waitcnt lgkmcnt(0)
	s_barrier
	buffer_gl0_inv
	s_and_saveexec_b32 s1, s0
	s_cbranch_execz .LBB10_16
; %bb.15:
	s_load_dwordx4 s[0:3], s[4:5], 0x18
	v_mov_b32_e32 v7, 0
	s_waitcnt lgkmcnt(0)
	s_clause 0x1
	global_load_ushort v5, v1, s[0:1]
	global_load_ushort v6, v1, s[2:3]
	ds_read_b64 v[3:4], v7 offset:64
	s_waitcnt lgkmcnt(0)
	v_mul_f32_e32 v1, 0x4b800000, v3
	v_cmp_gt_f32_e32 vcc_lo, 0x800000, v3
	v_sub_f32_e32 v2, v2, v4
	v_cndmask_b32_e32 v1, v3, v1, vcc_lo
	v_rsq_f32_e32 v3, v1
	v_mad_u64_u32 v[0:1], null, s11, s6, v[0:1]
	v_mov_b32_e32 v1, v7
	v_lshlrev_b64 v[0:1], 1, v[0:1]
	v_mul_f32_e32 v8, 0x45800000, v3
	v_cndmask_b32_e32 v3, v3, v8, vcc_lo
	v_add_co_u32 v0, vcc_lo, s8, v0
	v_add_co_ci_u32_e64 v1, null, s9, v1, vcc_lo
	v_mul_f32_e32 v2, v2, v3
	s_waitcnt vmcnt(0)
	v_fma_mixlo_f16 v2, v2, v5, v6 op_sel_hi:[0,1,1]
	global_store_short v[0:1], v2, off
.LBB10_16:
	s_endpgm
	.section	.rodata,"a",@progbits
	.p2align	6, 0x0
	.amdhsa_kernel _Z28addBiasResidualPostLayerNormI6__halfLi1ELi64EEvPT_PKS1_S4_S4_S4_fi
		.amdhsa_group_segment_fixed_size 72
		.amdhsa_private_segment_fixed_size 0
		.amdhsa_kernarg_size 304
		.amdhsa_user_sgpr_count 6
		.amdhsa_user_sgpr_private_segment_buffer 1
		.amdhsa_user_sgpr_dispatch_ptr 0
		.amdhsa_user_sgpr_queue_ptr 0
		.amdhsa_user_sgpr_kernarg_segment_ptr 1
		.amdhsa_user_sgpr_dispatch_id 0
		.amdhsa_user_sgpr_flat_scratch_init 0
		.amdhsa_user_sgpr_private_segment_size 0
		.amdhsa_wavefront_size32 1
		.amdhsa_uses_dynamic_stack 0
		.amdhsa_system_sgpr_private_segment_wavefront_offset 0
		.amdhsa_system_sgpr_workgroup_id_x 1
		.amdhsa_system_sgpr_workgroup_id_y 0
		.amdhsa_system_sgpr_workgroup_id_z 0
		.amdhsa_system_sgpr_workgroup_info 0
		.amdhsa_system_vgpr_workitem_id 0
		.amdhsa_next_free_vgpr 18
		.amdhsa_next_free_sgpr 16
		.amdhsa_reserve_vcc 1
		.amdhsa_reserve_flat_scratch 0
		.amdhsa_float_round_mode_32 0
		.amdhsa_float_round_mode_16_64 0
		.amdhsa_float_denorm_mode_32 3
		.amdhsa_float_denorm_mode_16_64 3
		.amdhsa_dx10_clamp 1
		.amdhsa_ieee_mode 1
		.amdhsa_fp16_overflow 0
		.amdhsa_workgroup_processor_mode 1
		.amdhsa_memory_ordered 1
		.amdhsa_forward_progress 1
		.amdhsa_shared_vgpr_count 0
		.amdhsa_exception_fp_ieee_invalid_op 0
		.amdhsa_exception_fp_denorm_src 0
		.amdhsa_exception_fp_ieee_div_zero 0
		.amdhsa_exception_fp_ieee_overflow 0
		.amdhsa_exception_fp_ieee_underflow 0
		.amdhsa_exception_fp_ieee_inexact 0
		.amdhsa_exception_int_div_zero 0
	.end_amdhsa_kernel
	.section	.text._Z28addBiasResidualPostLayerNormI6__halfLi1ELi64EEvPT_PKS1_S4_S4_S4_fi,"axG",@progbits,_Z28addBiasResidualPostLayerNormI6__halfLi1ELi64EEvPT_PKS1_S4_S4_S4_fi,comdat
.Lfunc_end10:
	.size	_Z28addBiasResidualPostLayerNormI6__halfLi1ELi64EEvPT_PKS1_S4_S4_S4_fi, .Lfunc_end10-_Z28addBiasResidualPostLayerNormI6__halfLi1ELi64EEvPT_PKS1_S4_S4_S4_fi
                                        ; -- End function
	.set _Z28addBiasResidualPostLayerNormI6__halfLi1ELi64EEvPT_PKS1_S4_S4_S4_fi.num_vgpr, 18
	.set _Z28addBiasResidualPostLayerNormI6__halfLi1ELi64EEvPT_PKS1_S4_S4_S4_fi.num_agpr, 0
	.set _Z28addBiasResidualPostLayerNormI6__halfLi1ELi64EEvPT_PKS1_S4_S4_S4_fi.numbered_sgpr, 16
	.set _Z28addBiasResidualPostLayerNormI6__halfLi1ELi64EEvPT_PKS1_S4_S4_S4_fi.num_named_barrier, 0
	.set _Z28addBiasResidualPostLayerNormI6__halfLi1ELi64EEvPT_PKS1_S4_S4_S4_fi.private_seg_size, 0
	.set _Z28addBiasResidualPostLayerNormI6__halfLi1ELi64EEvPT_PKS1_S4_S4_S4_fi.uses_vcc, 1
	.set _Z28addBiasResidualPostLayerNormI6__halfLi1ELi64EEvPT_PKS1_S4_S4_S4_fi.uses_flat_scratch, 0
	.set _Z28addBiasResidualPostLayerNormI6__halfLi1ELi64EEvPT_PKS1_S4_S4_S4_fi.has_dyn_sized_stack, 0
	.set _Z28addBiasResidualPostLayerNormI6__halfLi1ELi64EEvPT_PKS1_S4_S4_S4_fi.has_recursion, 0
	.set _Z28addBiasResidualPostLayerNormI6__halfLi1ELi64EEvPT_PKS1_S4_S4_S4_fi.has_indirect_call, 0
	.section	.AMDGPU.csdata,"",@progbits
; Kernel info:
; codeLenInByte = 1248
; TotalNumSgprs: 18
; NumVgprs: 18
; ScratchSize: 0
; MemoryBound: 0
; FloatMode: 240
; IeeeMode: 1
; LDSByteSize: 72 bytes/workgroup (compile time only)
; SGPRBlocks: 0
; VGPRBlocks: 2
; NumSGPRsForWavesPerEU: 18
; NumVGPRsForWavesPerEU: 18
; Occupancy: 16
; WaveLimiterHint : 0
; COMPUTE_PGM_RSRC2:SCRATCH_EN: 0
; COMPUTE_PGM_RSRC2:USER_SGPR: 6
; COMPUTE_PGM_RSRC2:TRAP_HANDLER: 0
; COMPUTE_PGM_RSRC2:TGID_X_EN: 1
; COMPUTE_PGM_RSRC2:TGID_Y_EN: 0
; COMPUTE_PGM_RSRC2:TGID_Z_EN: 0
; COMPUTE_PGM_RSRC2:TIDIG_COMP_CNT: 0
	.section	.text._Z28addBiasResidualPostLayerNormI6__halfLi2ELi64EEvPT_PKS1_S4_S4_S4_fi,"axG",@progbits,_Z28addBiasResidualPostLayerNormI6__halfLi2ELi64EEvPT_PKS1_S4_S4_S4_fi,comdat
	.protected	_Z28addBiasResidualPostLayerNormI6__halfLi2ELi64EEvPT_PKS1_S4_S4_S4_fi ; -- Begin function _Z28addBiasResidualPostLayerNormI6__halfLi2ELi64EEvPT_PKS1_S4_S4_S4_fi
	.globl	_Z28addBiasResidualPostLayerNormI6__halfLi2ELi64EEvPT_PKS1_S4_S4_S4_fi
	.p2align	8
	.type	_Z28addBiasResidualPostLayerNormI6__halfLi2ELi64EEvPT_PKS1_S4_S4_S4_fi,@function
_Z28addBiasResidualPostLayerNormI6__halfLi2ELi64EEvPT_PKS1_S4_S4_S4_fi: ; @_Z28addBiasResidualPostLayerNormI6__halfLi2ELi64EEvPT_PKS1_S4_S4_S4_fi
; %bb.0:
	s_clause 0x1
	s_load_dwordx2 s[14:15], s[4:5], 0x28
	s_load_dwordx2 s[12:13], s[4:5], 0x0
	v_mov_b32_e32 v6, 0
	v_mov_b32_e32 v3, 0
	v_lshlrev_b32_e32 v7, 1, v0
	v_mov_b32_e32 v2, v6
	s_waitcnt lgkmcnt(0)
	s_mul_i32 s6, s15, s6
	v_cmp_gt_i32_e64 s0, s15, v0
	v_add_nc_u32_e32 v1, s6, v0
	s_and_saveexec_b32 s1, s0
	s_cbranch_execz .LBB11_4
; %bb.1:
	s_clause 0x1
	s_load_dwordx4 s[8:11], s[4:5], 0x8
	s_load_dword s2, s[4:5], 0x3c
	v_mov_b32_e32 v2, 0
	v_lshlrev_b64 v[3:4], 1, v[1:2]
	v_add_co_u32 v5, vcc_lo, s12, v3
	v_add_co_ci_u32_e64 v6, null, s13, v4, vcc_lo
	s_waitcnt lgkmcnt(0)
	v_add_co_u32 v3, vcc_lo, s8, v3
	v_add_co_ci_u32_e64 v4, null, s9, v4, vcc_lo
	s_and_b32 s3, s2, 0xffff
	s_mov_b32 s2, exec_lo
	global_load_ushort v5, v[5:6], off
	global_load_ushort v3, v[3:4], off
	global_load_ushort v4, v7, s[10:11]
	s_waitcnt vmcnt(1)
	v_add_f16_e32 v3, v5, v3
	s_waitcnt vmcnt(0)
	v_add_f16_e32 v3, v3, v4
	v_add_nc_u32_e32 v4, s3, v0
	v_cvt_f32_f16_e32 v3, v3
	v_add_f32_e32 v6, 0, v3
	v_cmpx_gt_u32_e64 s15, v4
	s_cbranch_execz .LBB11_3
; %bb.2:
	v_add_nc_u32_e32 v4, s6, v4
	v_mov_b32_e32 v5, 0
	v_add_co_u32 v2, s7, s10, v7
	v_add_co_ci_u32_e64 v10, null, s11, 0, s7
	v_lshlrev_b64 v[4:5], 1, v[4:5]
	s_lshl_b32 s3, s3, 1
	v_add_co_u32 v8, vcc_lo, s12, v4
	v_add_co_ci_u32_e64 v9, null, s13, v5, vcc_lo
	v_add_co_u32 v4, vcc_lo, s8, v4
	v_add_co_ci_u32_e64 v5, null, s9, v5, vcc_lo
	global_load_ushort v8, v[8:9], off
	global_load_ushort v9, v[4:5], off
	v_add_co_u32 v4, vcc_lo, v2, s3
	v_add_co_ci_u32_e64 v5, null, 0, v10, vcc_lo
	global_load_ushort v2, v[4:5], off
	s_waitcnt vmcnt(1)
	v_add_f16_e32 v4, v8, v9
	s_waitcnt vmcnt(0)
	v_add_f16_e32 v2, v4, v2
	v_cvt_f32_f16_e32 v2, v2
	v_add_f32_e32 v6, v6, v2
.LBB11_3:
	s_or_b32 exec_lo, exec_lo, s2
.LBB11_4:
	s_or_b32 exec_lo, exec_lo, s1
	v_mbcnt_lo_u32_b32 v10, -1, 0
	v_or_b32_e32 v4, 32, v10
	v_xor_b32_e32 v5, 16, v10
	v_xor_b32_e32 v13, 1, v10
	v_cmp_gt_i32_e32 vcc_lo, 64, v4
	v_cndmask_b32_e32 v4, v10, v4, vcc_lo
	v_cmp_gt_i32_e32 vcc_lo, 64, v5
	v_lshlrev_b32_e32 v4, 2, v4
	v_cndmask_b32_e32 v5, v10, v5, vcc_lo
	ds_bpermute_b32 v8, v4, v6
	v_lshlrev_b32_e32 v5, 2, v5
	s_waitcnt lgkmcnt(0)
	v_add_f32_e32 v8, v6, v8
	v_xor_b32_e32 v6, 8, v10
	ds_bpermute_b32 v9, v5, v8
	v_cmp_gt_i32_e32 vcc_lo, 64, v6
	v_cndmask_b32_e32 v6, v10, v6, vcc_lo
	v_lshlrev_b32_e32 v6, 2, v6
	s_waitcnt lgkmcnt(0)
	v_add_f32_e32 v9, v8, v9
	v_xor_b32_e32 v8, 4, v10
	ds_bpermute_b32 v11, v6, v9
	v_cmp_gt_i32_e32 vcc_lo, 64, v8
	v_cndmask_b32_e32 v8, v10, v8, vcc_lo
	;; [unrolled: 7-line block ×3, first 2 shown]
	v_cmp_gt_i32_e32 vcc_lo, 64, v13
	v_lshlrev_b32_e32 v9, 2, v9
	v_cndmask_b32_e32 v10, v10, v13, vcc_lo
	v_lshlrev_b32_e32 v10, 2, v10
	s_waitcnt lgkmcnt(0)
	v_add_f32_e32 v11, v11, v12
	ds_bpermute_b32 v12, v9, v11
	s_waitcnt lgkmcnt(0)
	v_add_f32_e32 v13, v11, v12
	v_and_b32_e32 v11, 63, v0
	v_lshrrev_b32_e32 v12, 4, v0
	ds_bpermute_b32 v14, v10, v13
	v_cmp_eq_u32_e64 s1, 0, v11
	s_and_saveexec_b32 s2, s1
	s_cbranch_execz .LBB11_6
; %bb.5:
	s_waitcnt lgkmcnt(0)
	v_add_f32_e32 v13, v13, v14
	ds_write_b32 v12, v13
.LBB11_6:
	s_or_b32 exec_lo, exec_lo, s2
	s_waitcnt lgkmcnt(0)
	s_barrier
	buffer_gl0_inv
	s_load_dword s7, s[4:5], 0x3c
	v_mov_b32_e32 v14, 0
	v_lshlrev_b32_e32 v13, 2, v11
	s_waitcnt lgkmcnt(0)
	s_bfe_u32 s2, s7, 0xa0006
	v_cmp_gt_u32_e64 s2, s2, v0
	s_and_saveexec_b32 s3, s2
; %bb.7:
	ds_read_b32 v14, v13
; %bb.8:
	s_or_b32 exec_lo, exec_lo, s3
	s_waitcnt lgkmcnt(0)
	ds_bpermute_b32 v11, v4, v14
	v_cmp_eq_u32_e64 s3, 0, v0
	s_waitcnt lgkmcnt(0)
	v_add_f32_e32 v11, v14, v11
	ds_bpermute_b32 v14, v5, v11
	s_waitcnt lgkmcnt(0)
	v_add_f32_e32 v11, v11, v14
	ds_bpermute_b32 v14, v6, v11
	;; [unrolled: 3-line block ×4, first 2 shown]
	s_waitcnt lgkmcnt(0)
	v_add_f32_e32 v14, v11, v14
	v_cvt_f32_i32_e32 v11, s15
	ds_bpermute_b32 v15, v10, v14
	s_and_saveexec_b32 s8, s3
	s_cbranch_execz .LBB11_10
; %bb.9:
	s_waitcnt lgkmcnt(0)
	v_add_f32_e32 v14, v14, v15
	v_div_scale_f32 v15, null, v11, v11, v14
	v_div_scale_f32 v18, vcc_lo, v14, v11, v14
	v_rcp_f32_e32 v16, v15
	v_fma_f32 v17, -v15, v16, 1.0
	v_fmac_f32_e32 v16, v17, v16
	v_mul_f32_e32 v17, v18, v16
	v_fma_f32 v19, -v15, v17, v18
	v_fmac_f32_e32 v17, v19, v16
	v_fma_f32 v15, -v15, v17, v18
	v_div_fmas_f32 v15, v15, v16, v17
	v_div_fixup_f32 v14, v15, v11, v14
	v_mov_b32_e32 v15, 0
	ds_write_b32 v15, v14 offset:68
.LBB11_10:
	s_or_b32 exec_lo, exec_lo, s8
	s_and_b32 s7, 0xffff, s7
	v_mov_b32_e32 v14, 0
	v_add_nc_u32_e32 v0, s7, v0
	s_waitcnt lgkmcnt(0)
	s_barrier
	buffer_gl0_inv
	s_and_saveexec_b32 s8, s0
	s_cbranch_execz .LBB11_12
; %bb.11:
	v_mov_b32_e32 v14, 0
	v_cmp_gt_u32_e32 vcc_lo, s15, v0
	ds_read_b32 v14, v14 offset:68
	s_waitcnt lgkmcnt(0)
	v_sub_f32_e32 v15, v3, v14
	v_sub_f32_e32 v14, v2, v14
	v_mul_f32_e32 v15, v15, v15
	v_fma_f32 v14, v14, v14, v15
	v_cndmask_b32_e32 v14, v15, v14, vcc_lo
.LBB11_12:
	s_or_b32 exec_lo, exec_lo, s8
	ds_bpermute_b32 v15, v4, v14
	s_waitcnt lgkmcnt(0)
	v_add_f32_e32 v14, v14, v15
	ds_bpermute_b32 v15, v5, v14
	s_waitcnt lgkmcnt(0)
	v_add_f32_e32 v14, v14, v15
	;; [unrolled: 3-line block ×5, first 2 shown]
	ds_bpermute_b32 v15, v10, v14
	s_and_saveexec_b32 s8, s1
	s_cbranch_execz .LBB11_14
; %bb.13:
	s_waitcnt lgkmcnt(0)
	v_add_f32_e32 v14, v14, v15
	ds_write_b32 v12, v14
.LBB11_14:
	s_or_b32 exec_lo, exec_lo, s8
	v_mov_b32_e32 v12, 0
	s_waitcnt lgkmcnt(0)
	s_barrier
	buffer_gl0_inv
	s_and_saveexec_b32 s1, s2
; %bb.15:
	ds_read_b32 v12, v13
; %bb.16:
	s_or_b32 exec_lo, exec_lo, s1
	s_waitcnt lgkmcnt(0)
	ds_bpermute_b32 v4, v4, v12
	s_waitcnt lgkmcnt(0)
	v_add_f32_e32 v4, v12, v4
	ds_bpermute_b32 v5, v5, v4
	s_waitcnt lgkmcnt(0)
	v_add_f32_e32 v4, v4, v5
	;; [unrolled: 3-line block ×5, first 2 shown]
	ds_bpermute_b32 v5, v10, v4
	s_and_saveexec_b32 s1, s3
	s_cbranch_execz .LBB11_18
; %bb.17:
	s_waitcnt lgkmcnt(0)
	v_add_f32_e32 v4, v4, v5
	v_div_scale_f32 v5, null, v11, v11, v4
	v_div_scale_f32 v9, vcc_lo, v4, v11, v4
	v_rcp_f32_e32 v6, v5
	v_fma_f32 v8, -v5, v6, 1.0
	v_fmac_f32_e32 v6, v8, v6
	v_mul_f32_e32 v8, v9, v6
	v_fma_f32 v10, -v5, v8, v9
	v_fmac_f32_e32 v8, v10, v6
	v_fma_f32 v5, -v5, v8, v9
	v_div_fmas_f32 v5, v5, v6, v8
	v_div_fixup_f32 v4, v5, v11, v4
	v_mov_b32_e32 v5, 0
	v_add_f32_e32 v4, s14, v4
	ds_write_b32 v5, v4 offset:64
.LBB11_18:
	s_or_b32 exec_lo, exec_lo, s1
	s_waitcnt lgkmcnt(0)
	s_barrier
	buffer_gl0_inv
	s_and_saveexec_b32 s1, s0
	s_cbranch_execz .LBB11_21
; %bb.19:
	s_load_dwordx4 s[0:3], s[4:5], 0x18
	v_mov_b32_e32 v4, 0
	s_waitcnt lgkmcnt(0)
	s_clause 0x1
	global_load_ushort v10, v7, s[0:1]
	global_load_ushort v11, v7, s[2:3]
	ds_read_b64 v[5:6], v4 offset:64
	s_waitcnt lgkmcnt(0)
	v_mul_f32_e32 v8, 0x4b800000, v5
	v_cmp_gt_f32_e32 vcc_lo, 0x800000, v5
	v_sub_f32_e32 v9, v3, v6
	v_mov_b32_e32 v3, v1
	v_cndmask_b32_e32 v5, v5, v8, vcc_lo
	v_rsq_f32_e32 v5, v5
	v_mul_f32_e32 v8, 0x45800000, v5
	v_cndmask_b32_e32 v5, v5, v8, vcc_lo
	v_mul_f32_e32 v1, v9, v5
	v_lshlrev_b64 v[8:9], 1, v[3:4]
	v_add_co_u32 v8, vcc_lo, s12, v8
	v_add_co_ci_u32_e64 v9, null, s13, v9, vcc_lo
	v_cmp_gt_u32_e32 vcc_lo, s15, v0
	s_waitcnt vmcnt(0)
	v_fma_mixlo_f16 v1, v1, v10, v11 op_sel_hi:[0,1,1]
	global_store_short v[8:9], v1, off
	s_and_b32 exec_lo, exec_lo, vcc_lo
	s_cbranch_execz .LBB11_21
; %bb.20:
	v_add_co_u32 v1, s0, s0, v7
	v_add_co_ci_u32_e64 v3, null, s1, 0, s0
	v_add_co_u32 v9, s0, s2, v7
	v_add_co_ci_u32_e64 v10, null, s3, 0, s0
	s_lshl_b32 s0, s7, 1
	v_add_co_u32 v7, vcc_lo, v1, s0
	v_add_co_ci_u32_e64 v8, null, 0, v3, vcc_lo
	v_add_co_u32 v9, vcc_lo, v9, s0
	v_add_co_ci_u32_e64 v10, null, 0, v10, vcc_lo
	global_load_ushort v7, v[7:8], off
	global_load_ushort v8, v[9:10], off
	v_sub_f32_e32 v1, v2, v6
	v_add_nc_u32_e32 v3, s6, v0
	v_mul_f32_e32 v2, v1, v5
	v_lshlrev_b64 v[0:1], 1, v[3:4]
	v_add_co_u32 v0, vcc_lo, s12, v0
	v_add_co_ci_u32_e64 v1, null, s13, v1, vcc_lo
	s_waitcnt vmcnt(0)
	v_fma_mixlo_f16 v2, v2, v7, v8 op_sel_hi:[0,1,1]
	global_store_short v[0:1], v2, off
.LBB11_21:
	s_endpgm
	.section	.rodata,"a",@progbits
	.p2align	6, 0x0
	.amdhsa_kernel _Z28addBiasResidualPostLayerNormI6__halfLi2ELi64EEvPT_PKS1_S4_S4_S4_fi
		.amdhsa_group_segment_fixed_size 72
		.amdhsa_private_segment_fixed_size 0
		.amdhsa_kernarg_size 304
		.amdhsa_user_sgpr_count 6
		.amdhsa_user_sgpr_private_segment_buffer 1
		.amdhsa_user_sgpr_dispatch_ptr 0
		.amdhsa_user_sgpr_queue_ptr 0
		.amdhsa_user_sgpr_kernarg_segment_ptr 1
		.amdhsa_user_sgpr_dispatch_id 0
		.amdhsa_user_sgpr_flat_scratch_init 0
		.amdhsa_user_sgpr_private_segment_size 0
		.amdhsa_wavefront_size32 1
		.amdhsa_uses_dynamic_stack 0
		.amdhsa_system_sgpr_private_segment_wavefront_offset 0
		.amdhsa_system_sgpr_workgroup_id_x 1
		.amdhsa_system_sgpr_workgroup_id_y 0
		.amdhsa_system_sgpr_workgroup_id_z 0
		.amdhsa_system_sgpr_workgroup_info 0
		.amdhsa_system_vgpr_workitem_id 0
		.amdhsa_next_free_vgpr 20
		.amdhsa_next_free_sgpr 16
		.amdhsa_reserve_vcc 1
		.amdhsa_reserve_flat_scratch 0
		.amdhsa_float_round_mode_32 0
		.amdhsa_float_round_mode_16_64 0
		.amdhsa_float_denorm_mode_32 3
		.amdhsa_float_denorm_mode_16_64 3
		.amdhsa_dx10_clamp 1
		.amdhsa_ieee_mode 1
		.amdhsa_fp16_overflow 0
		.amdhsa_workgroup_processor_mode 1
		.amdhsa_memory_ordered 1
		.amdhsa_forward_progress 1
		.amdhsa_shared_vgpr_count 0
		.amdhsa_exception_fp_ieee_invalid_op 0
		.amdhsa_exception_fp_denorm_src 0
		.amdhsa_exception_fp_ieee_div_zero 0
		.amdhsa_exception_fp_ieee_overflow 0
		.amdhsa_exception_fp_ieee_underflow 0
		.amdhsa_exception_fp_ieee_inexact 0
		.amdhsa_exception_int_div_zero 0
	.end_amdhsa_kernel
	.section	.text._Z28addBiasResidualPostLayerNormI6__halfLi2ELi64EEvPT_PKS1_S4_S4_S4_fi,"axG",@progbits,_Z28addBiasResidualPostLayerNormI6__halfLi2ELi64EEvPT_PKS1_S4_S4_S4_fi,comdat
.Lfunc_end11:
	.size	_Z28addBiasResidualPostLayerNormI6__halfLi2ELi64EEvPT_PKS1_S4_S4_S4_fi, .Lfunc_end11-_Z28addBiasResidualPostLayerNormI6__halfLi2ELi64EEvPT_PKS1_S4_S4_S4_fi
                                        ; -- End function
	.set _Z28addBiasResidualPostLayerNormI6__halfLi2ELi64EEvPT_PKS1_S4_S4_S4_fi.num_vgpr, 20
	.set _Z28addBiasResidualPostLayerNormI6__halfLi2ELi64EEvPT_PKS1_S4_S4_S4_fi.num_agpr, 0
	.set _Z28addBiasResidualPostLayerNormI6__halfLi2ELi64EEvPT_PKS1_S4_S4_S4_fi.numbered_sgpr, 16
	.set _Z28addBiasResidualPostLayerNormI6__halfLi2ELi64EEvPT_PKS1_S4_S4_S4_fi.num_named_barrier, 0
	.set _Z28addBiasResidualPostLayerNormI6__halfLi2ELi64EEvPT_PKS1_S4_S4_S4_fi.private_seg_size, 0
	.set _Z28addBiasResidualPostLayerNormI6__halfLi2ELi64EEvPT_PKS1_S4_S4_S4_fi.uses_vcc, 1
	.set _Z28addBiasResidualPostLayerNormI6__halfLi2ELi64EEvPT_PKS1_S4_S4_S4_fi.uses_flat_scratch, 0
	.set _Z28addBiasResidualPostLayerNormI6__halfLi2ELi64EEvPT_PKS1_S4_S4_S4_fi.has_dyn_sized_stack, 0
	.set _Z28addBiasResidualPostLayerNormI6__halfLi2ELi64EEvPT_PKS1_S4_S4_S4_fi.has_recursion, 0
	.set _Z28addBiasResidualPostLayerNormI6__halfLi2ELi64EEvPT_PKS1_S4_S4_S4_fi.has_indirect_call, 0
	.section	.AMDGPU.csdata,"",@progbits
; Kernel info:
; codeLenInByte = 1620
; TotalNumSgprs: 18
; NumVgprs: 20
; ScratchSize: 0
; MemoryBound: 0
; FloatMode: 240
; IeeeMode: 1
; LDSByteSize: 72 bytes/workgroup (compile time only)
; SGPRBlocks: 0
; VGPRBlocks: 2
; NumSGPRsForWavesPerEU: 18
; NumVGPRsForWavesPerEU: 20
; Occupancy: 16
; WaveLimiterHint : 0
; COMPUTE_PGM_RSRC2:SCRATCH_EN: 0
; COMPUTE_PGM_RSRC2:USER_SGPR: 6
; COMPUTE_PGM_RSRC2:TRAP_HANDLER: 0
; COMPUTE_PGM_RSRC2:TGID_X_EN: 1
; COMPUTE_PGM_RSRC2:TGID_Y_EN: 0
; COMPUTE_PGM_RSRC2:TGID_Z_EN: 0
; COMPUTE_PGM_RSRC2:TIDIG_COMP_CNT: 0
	.section	.text._Z35generalAddBiasResidualPostLayerNormI6__halfLi64EEvPT_PKS1_S4_S4_S4_fi,"axG",@progbits,_Z35generalAddBiasResidualPostLayerNormI6__halfLi64EEvPT_PKS1_S4_S4_S4_fi,comdat
	.protected	_Z35generalAddBiasResidualPostLayerNormI6__halfLi64EEvPT_PKS1_S4_S4_S4_fi ; -- Begin function _Z35generalAddBiasResidualPostLayerNormI6__halfLi64EEvPT_PKS1_S4_S4_S4_fi
	.globl	_Z35generalAddBiasResidualPostLayerNormI6__halfLi64EEvPT_PKS1_S4_S4_S4_fi
	.p2align	8
	.type	_Z35generalAddBiasResidualPostLayerNormI6__halfLi64EEvPT_PKS1_S4_S4_S4_fi,@function
_Z35generalAddBiasResidualPostLayerNormI6__halfLi64EEvPT_PKS1_S4_S4_S4_fi: ; @_Z35generalAddBiasResidualPostLayerNormI6__halfLi64EEvPT_PKS1_S4_S4_S4_fi
; %bb.0:
	s_clause 0x2
	s_load_dwordx2 s[18:19], s[4:5], 0x28
	s_load_dwordx2 s[16:17], s[4:5], 0x0
	s_load_dwordx4 s[8:11], s[4:5], 0x18
	v_mov_b32_e32 v4, 0
	v_lshlrev_b32_e32 v3, 2, v0
	s_waitcnt lgkmcnt(0)
	s_lshr_b32 s0, s19, 31
	s_mul_i32 s6, s19, s6
	s_add_i32 s0, s19, s0
	s_ashr_i32 s7, s0, 1
	v_cmp_gt_i32_e64 s0, s7, v0
	s_and_saveexec_b32 s2, s0
	s_cbranch_execz .LBB12_4
; %bb.1:
	s_clause 0x1
	s_load_dwordx4 s[12:15], s[4:5], 0x8
	s_load_dword s1, s[4:5], 0x3c
	v_mov_b32_e32 v4, 0
	v_mov_b32_e32 v5, v0
	s_lshr_b32 s3, s6, 1
	s_waitcnt lgkmcnt(0)
	v_add_co_u32 v1, s14, s14, v3
	v_add_co_ci_u32_e64 v2, null, s15, 0, s14
	s_and_b32 s15, s1, 0xffff
	s_mov_b32 s14, 0
	s_lshl_b32 s20, s15, 2
	s_inst_prefetch 0x1
	.p2align	6
.LBB12_2:                               ; =>This Inner Loop Header: Depth=1
	v_add_nc_u32_e32 v6, s3, v5
	v_add_nc_u32_e32 v5, s15, v5
	v_ashrrev_i32_e32 v7, 31, v6
	v_cmp_le_i32_e64 s1, s7, v5
	v_lshlrev_b64 v[6:7], 2, v[6:7]
	s_or_b32 s14, s1, s14
	v_add_co_u32 v8, vcc_lo, s16, v6
	v_add_co_ci_u32_e64 v9, null, s17, v7, vcc_lo
	v_add_co_u32 v6, vcc_lo, s12, v6
	v_add_co_ci_u32_e64 v7, null, s13, v7, vcc_lo
	global_load_dword v10, v[8:9], off
	global_load_dword v6, v[6:7], off
	;; [unrolled: 1-line block ×3, first 2 shown]
	v_add_co_u32 v1, vcc_lo, v1, s20
	v_add_co_ci_u32_e64 v2, null, 0, v2, vcc_lo
	s_waitcnt vmcnt(1)
	v_pk_add_f16 v6, v10, v6
	s_waitcnt vmcnt(0)
	v_pk_add_f16 v6, v6, v7
	v_cvt_f32_f16_e32 v7, v6
	v_cvt_f32_f16_sdwa v10, v6 dst_sel:DWORD dst_unused:UNUSED_PAD src0_sel:WORD_1
	global_store_dword v[8:9], v6, off
	v_add_f32_e32 v4, v4, v7
	v_add_f32_e32 v4, v4, v10
	s_andn2_b32 exec_lo, exec_lo, s14
	s_cbranch_execnz .LBB12_2
; %bb.3:
	s_inst_prefetch 0x2
	s_or_b32 exec_lo, exec_lo, s14
.LBB12_4:
	s_or_b32 exec_lo, exec_lo, s2
	v_mbcnt_lo_u32_b32 v7, -1, 0
	v_or_b32_e32 v1, 32, v7
	v_xor_b32_e32 v2, 16, v7
	v_xor_b32_e32 v10, 1, v7
	v_cmp_gt_i32_e32 vcc_lo, 64, v1
	v_cndmask_b32_e32 v1, v7, v1, vcc_lo
	v_cmp_gt_i32_e32 vcc_lo, 64, v2
	v_lshlrev_b32_e32 v1, 2, v1
	v_cndmask_b32_e32 v2, v7, v2, vcc_lo
	ds_bpermute_b32 v5, v1, v4
	v_lshlrev_b32_e32 v2, 2, v2
	s_waitcnt lgkmcnt(0)
	v_add_f32_e32 v5, v4, v5
	v_xor_b32_e32 v4, 8, v7
	ds_bpermute_b32 v6, v2, v5
	v_cmp_gt_i32_e32 vcc_lo, 64, v4
	v_cndmask_b32_e32 v4, v7, v4, vcc_lo
	v_lshlrev_b32_e32 v4, 2, v4
	s_waitcnt lgkmcnt(0)
	v_add_f32_e32 v6, v5, v6
	v_xor_b32_e32 v5, 4, v7
	ds_bpermute_b32 v8, v4, v6
	v_cmp_gt_i32_e32 vcc_lo, 64, v5
	v_cndmask_b32_e32 v5, v7, v5, vcc_lo
	;; [unrolled: 7-line block ×3, first 2 shown]
	v_cmp_gt_i32_e32 vcc_lo, 64, v10
	v_lshlrev_b32_e32 v6, 2, v6
	v_cndmask_b32_e32 v7, v7, v10, vcc_lo
	v_lshlrev_b32_e32 v7, 2, v7
	s_waitcnt lgkmcnt(0)
	v_add_f32_e32 v8, v8, v9
	ds_bpermute_b32 v9, v6, v8
	s_waitcnt lgkmcnt(0)
	v_add_f32_e32 v10, v8, v9
	v_and_b32_e32 v8, 63, v0
	v_lshrrev_b32_e32 v9, 4, v0
	ds_bpermute_b32 v11, v7, v10
	v_cmp_eq_u32_e64 s1, 0, v8
	s_and_saveexec_b32 s2, s1
	s_cbranch_execz .LBB12_6
; %bb.5:
	s_waitcnt lgkmcnt(0)
	v_add_f32_e32 v10, v10, v11
	ds_write_b32 v9, v10
.LBB12_6:
	s_or_b32 exec_lo, exec_lo, s2
	s_waitcnt lgkmcnt(0)
	s_waitcnt_vscnt null, 0x0
	s_barrier
	buffer_gl0_inv
	s_load_dword s4, s[4:5], 0x3c
	v_mov_b32_e32 v11, 0
	v_lshlrev_b32_e32 v10, 2, v8
	s_waitcnt lgkmcnt(0)
	s_bfe_u32 s2, s4, 0xa0006
	v_cmp_gt_u32_e64 s2, s2, v0
	s_and_saveexec_b32 s3, s2
; %bb.7:
	ds_read_b32 v11, v10
; %bb.8:
	s_or_b32 exec_lo, exec_lo, s3
	s_waitcnt lgkmcnt(0)
	ds_bpermute_b32 v8, v1, v11
	v_cmp_eq_u32_e64 s3, 0, v0
	s_waitcnt lgkmcnt(0)
	v_add_f32_e32 v8, v11, v8
	ds_bpermute_b32 v11, v2, v8
	s_waitcnt lgkmcnt(0)
	v_add_f32_e32 v8, v8, v11
	ds_bpermute_b32 v11, v4, v8
	;; [unrolled: 3-line block ×4, first 2 shown]
	s_waitcnt lgkmcnt(0)
	v_add_f32_e32 v11, v8, v11
	v_cvt_f32_i32_e32 v8, s19
	ds_bpermute_b32 v12, v7, v11
	s_and_saveexec_b32 s5, s3
	s_cbranch_execz .LBB12_10
; %bb.9:
	s_waitcnt lgkmcnt(0)
	v_add_f32_e32 v11, v11, v12
	v_div_scale_f32 v12, null, v8, v8, v11
	v_div_scale_f32 v15, vcc_lo, v11, v8, v11
	v_rcp_f32_e32 v13, v12
	v_fma_f32 v14, -v12, v13, 1.0
	v_fmac_f32_e32 v13, v14, v13
	v_mul_f32_e32 v14, v15, v13
	v_fma_f32 v16, -v12, v14, v15
	v_fmac_f32_e32 v14, v16, v13
	v_fma_f32 v12, -v12, v14, v15
	v_div_fmas_f32 v12, v12, v13, v14
	v_div_fixup_f32 v11, v12, v8, v11
	v_mov_b32_e32 v12, 0
	ds_write_b32 v12, v11 offset:68
.LBB12_10:
	s_or_b32 exec_lo, exec_lo, s5
	v_mov_b32_e32 v11, 0
	s_and_b32 s4, 0xffff, s4
	s_waitcnt lgkmcnt(0)
	s_barrier
	buffer_gl0_inv
	s_and_saveexec_b32 s5, s0
	s_cbranch_execz .LBB12_14
; %bb.11:
	v_mov_b32_e32 v11, 0
	v_mov_b32_e32 v13, v0
	s_lshr_b32 s13, s6, 1
	s_mov_b32 s12, 0
	ds_read_b32 v12, v11 offset:68
	.p2align	6
.LBB12_12:                              ; =>This Inner Loop Header: Depth=1
	v_add_nc_u32_e32 v14, s13, v13
	v_add_nc_u32_e32 v13, s4, v13
	v_ashrrev_i32_e32 v15, 31, v14
	v_lshlrev_b64 v[14:15], 2, v[14:15]
	v_add_co_u32 v14, vcc_lo, s16, v14
	v_add_co_ci_u32_e64 v15, null, s17, v15, vcc_lo
	v_cmp_le_i32_e32 vcc_lo, s7, v13
	global_load_dword v14, v[14:15], off
	s_or_b32 s12, vcc_lo, s12
	s_waitcnt vmcnt(0)
	v_cvt_f32_f16_e32 v15, v14
	v_cvt_f32_f16_sdwa v14, v14 dst_sel:DWORD dst_unused:UNUSED_PAD src0_sel:WORD_1
	s_waitcnt lgkmcnt(0)
	v_sub_f32_e32 v15, v15, v12
	v_sub_f32_e32 v14, v14, v12
	v_fmac_f32_e32 v11, v15, v15
	v_fmac_f32_e32 v11, v14, v14
	s_andn2_b32 exec_lo, exec_lo, s12
	s_cbranch_execnz .LBB12_12
; %bb.13:
	s_or_b32 exec_lo, exec_lo, s12
.LBB12_14:
	s_or_b32 exec_lo, exec_lo, s5
	ds_bpermute_b32 v12, v1, v11
	s_waitcnt lgkmcnt(0)
	v_add_f32_e32 v11, v11, v12
	ds_bpermute_b32 v12, v2, v11
	s_waitcnt lgkmcnt(0)
	v_add_f32_e32 v11, v11, v12
	;; [unrolled: 3-line block ×5, first 2 shown]
	ds_bpermute_b32 v12, v7, v11
	s_and_saveexec_b32 s5, s1
	s_cbranch_execz .LBB12_16
; %bb.15:
	s_waitcnt lgkmcnt(0)
	v_add_f32_e32 v11, v11, v12
	ds_write_b32 v9, v11
.LBB12_16:
	s_or_b32 exec_lo, exec_lo, s5
	v_mov_b32_e32 v9, 0
	s_waitcnt lgkmcnt(0)
	s_barrier
	buffer_gl0_inv
	s_and_saveexec_b32 s1, s2
; %bb.17:
	ds_read_b32 v9, v10
; %bb.18:
	s_or_b32 exec_lo, exec_lo, s1
	s_waitcnt lgkmcnt(0)
	ds_bpermute_b32 v1, v1, v9
	s_waitcnt lgkmcnt(0)
	v_add_f32_e32 v1, v9, v1
	ds_bpermute_b32 v2, v2, v1
	s_waitcnt lgkmcnt(0)
	v_add_f32_e32 v1, v1, v2
	;; [unrolled: 3-line block ×5, first 2 shown]
	ds_bpermute_b32 v2, v7, v1
	s_and_saveexec_b32 s1, s3
	s_cbranch_execz .LBB12_20
; %bb.19:
	s_waitcnt lgkmcnt(0)
	v_add_f32_e32 v1, v1, v2
	v_div_scale_f32 v2, null, v8, v8, v1
	v_div_scale_f32 v6, vcc_lo, v1, v8, v1
	v_rcp_f32_e32 v4, v2
	v_fma_f32 v5, -v2, v4, 1.0
	v_fmac_f32_e32 v4, v5, v4
	v_mul_f32_e32 v5, v6, v4
	v_fma_f32 v7, -v2, v5, v6
	v_fmac_f32_e32 v5, v7, v4
	v_fma_f32 v2, -v2, v5, v6
	v_div_fmas_f32 v2, v2, v4, v5
	v_div_fixup_f32 v1, v2, v8, v1
	v_add_f32_e32 v1, s18, v1
	v_mul_f32_e32 v2, 0x4b800000, v1
	v_cmp_gt_f32_e32 vcc_lo, 0x800000, v1
	v_cndmask_b32_e32 v1, v1, v2, vcc_lo
	v_rsq_f32_e32 v1, v1
	v_mul_f32_e32 v2, 0x45800000, v1
	v_cndmask_b32_e32 v1, v1, v2, vcc_lo
	v_mov_b32_e32 v2, 0
	ds_write_b32 v2, v1 offset:64
.LBB12_20:
	s_or_b32 exec_lo, exec_lo, s1
	s_waitcnt lgkmcnt(0)
	s_barrier
	buffer_gl0_inv
	s_and_saveexec_b32 s1, s0
	s_cbranch_execz .LBB12_23
; %bb.21:
	v_mov_b32_e32 v4, 0
	s_lshr_b32 s1, s6, 1
	s_mov_b32 s2, 0
	s_lshl_b32 s3, s4, 2
	ds_read_b64 v[1:2], v4 offset:64
	s_inst_prefetch 0x1
	.p2align	6
.LBB12_22:                              ; =>This Inner Loop Header: Depth=1
	v_add_nc_u32_e32 v5, s1, v0
	v_add_nc_u32_e32 v0, s4, v0
	v_ashrrev_i32_e32 v6, 31, v5
	v_cmp_le_i32_e64 s0, s7, v0
	v_lshlrev_b64 v[5:6], 2, v[5:6]
	s_or_b32 s2, s0, s2
	v_add_co_u32 v5, vcc_lo, s16, v5
	v_add_co_ci_u32_e64 v6, null, s17, v6, vcc_lo
	v_add_co_u32 v7, vcc_lo, s8, v3
	v_add_co_ci_u32_e64 v8, null, s9, v4, vcc_lo
	global_load_dword v11, v[5:6], off
	v_add_co_u32 v9, vcc_lo, s10, v3
	v_add_co_ci_u32_e64 v10, null, s11, v4, vcc_lo
	global_load_dword v7, v[7:8], off
	global_load_dword v8, v[9:10], off
	v_add_co_u32 v3, vcc_lo, v3, s3
	v_add_co_ci_u32_e64 v4, null, 0, v4, vcc_lo
	s_waitcnt vmcnt(2)
	v_cvt_f32_f16_e32 v9, v11
	v_cvt_f32_f16_sdwa v10, v11 dst_sel:DWORD dst_unused:UNUSED_PAD src0_sel:WORD_1
	s_waitcnt lgkmcnt(0)
	v_sub_f32_e32 v9, v9, v2
	v_sub_f32_e32 v10, v10, v2
	v_mul_f32_e32 v9, v9, v1
	v_mul_f32_e32 v10, v1, v10
	s_waitcnt vmcnt(0)
	v_fma_mixlo_f16 v9, v9, v7, v8 op_sel_hi:[0,1,1]
	v_fma_mixhi_f16 v9, v10, v7, v8 op_sel:[0,1,1] op_sel_hi:[0,1,1]
	global_store_dword v[5:6], v9, off
	s_andn2_b32 exec_lo, exec_lo, s2
	s_cbranch_execnz .LBB12_22
.LBB12_23:
	s_inst_prefetch 0x2
	s_endpgm
	.section	.rodata,"a",@progbits
	.p2align	6, 0x0
	.amdhsa_kernel _Z35generalAddBiasResidualPostLayerNormI6__halfLi64EEvPT_PKS1_S4_S4_S4_fi
		.amdhsa_group_segment_fixed_size 72
		.amdhsa_private_segment_fixed_size 0
		.amdhsa_kernarg_size 304
		.amdhsa_user_sgpr_count 6
		.amdhsa_user_sgpr_private_segment_buffer 1
		.amdhsa_user_sgpr_dispatch_ptr 0
		.amdhsa_user_sgpr_queue_ptr 0
		.amdhsa_user_sgpr_kernarg_segment_ptr 1
		.amdhsa_user_sgpr_dispatch_id 0
		.amdhsa_user_sgpr_flat_scratch_init 0
		.amdhsa_user_sgpr_private_segment_size 0
		.amdhsa_wavefront_size32 1
		.amdhsa_uses_dynamic_stack 0
		.amdhsa_system_sgpr_private_segment_wavefront_offset 0
		.amdhsa_system_sgpr_workgroup_id_x 1
		.amdhsa_system_sgpr_workgroup_id_y 0
		.amdhsa_system_sgpr_workgroup_id_z 0
		.amdhsa_system_sgpr_workgroup_info 0
		.amdhsa_system_vgpr_workitem_id 0
		.amdhsa_next_free_vgpr 17
		.amdhsa_next_free_sgpr 21
		.amdhsa_reserve_vcc 1
		.amdhsa_reserve_flat_scratch 0
		.amdhsa_float_round_mode_32 0
		.amdhsa_float_round_mode_16_64 0
		.amdhsa_float_denorm_mode_32 3
		.amdhsa_float_denorm_mode_16_64 3
		.amdhsa_dx10_clamp 1
		.amdhsa_ieee_mode 1
		.amdhsa_fp16_overflow 0
		.amdhsa_workgroup_processor_mode 1
		.amdhsa_memory_ordered 1
		.amdhsa_forward_progress 1
		.amdhsa_shared_vgpr_count 0
		.amdhsa_exception_fp_ieee_invalid_op 0
		.amdhsa_exception_fp_denorm_src 0
		.amdhsa_exception_fp_ieee_div_zero 0
		.amdhsa_exception_fp_ieee_overflow 0
		.amdhsa_exception_fp_ieee_underflow 0
		.amdhsa_exception_fp_ieee_inexact 0
		.amdhsa_exception_int_div_zero 0
	.end_amdhsa_kernel
	.section	.text._Z35generalAddBiasResidualPostLayerNormI6__halfLi64EEvPT_PKS1_S4_S4_S4_fi,"axG",@progbits,_Z35generalAddBiasResidualPostLayerNormI6__halfLi64EEvPT_PKS1_S4_S4_S4_fi,comdat
.Lfunc_end12:
	.size	_Z35generalAddBiasResidualPostLayerNormI6__halfLi64EEvPT_PKS1_S4_S4_S4_fi, .Lfunc_end12-_Z35generalAddBiasResidualPostLayerNormI6__halfLi64EEvPT_PKS1_S4_S4_S4_fi
                                        ; -- End function
	.set _Z35generalAddBiasResidualPostLayerNormI6__halfLi64EEvPT_PKS1_S4_S4_S4_fi.num_vgpr, 17
	.set _Z35generalAddBiasResidualPostLayerNormI6__halfLi64EEvPT_PKS1_S4_S4_S4_fi.num_agpr, 0
	.set _Z35generalAddBiasResidualPostLayerNormI6__halfLi64EEvPT_PKS1_S4_S4_S4_fi.numbered_sgpr, 21
	.set _Z35generalAddBiasResidualPostLayerNormI6__halfLi64EEvPT_PKS1_S4_S4_S4_fi.num_named_barrier, 0
	.set _Z35generalAddBiasResidualPostLayerNormI6__halfLi64EEvPT_PKS1_S4_S4_S4_fi.private_seg_size, 0
	.set _Z35generalAddBiasResidualPostLayerNormI6__halfLi64EEvPT_PKS1_S4_S4_S4_fi.uses_vcc, 1
	.set _Z35generalAddBiasResidualPostLayerNormI6__halfLi64EEvPT_PKS1_S4_S4_S4_fi.uses_flat_scratch, 0
	.set _Z35generalAddBiasResidualPostLayerNormI6__halfLi64EEvPT_PKS1_S4_S4_S4_fi.has_dyn_sized_stack, 0
	.set _Z35generalAddBiasResidualPostLayerNormI6__halfLi64EEvPT_PKS1_S4_S4_S4_fi.has_recursion, 0
	.set _Z35generalAddBiasResidualPostLayerNormI6__halfLi64EEvPT_PKS1_S4_S4_S4_fi.has_indirect_call, 0
	.section	.AMDGPU.csdata,"",@progbits
; Kernel info:
; codeLenInByte = 1736
; TotalNumSgprs: 23
; NumVgprs: 17
; ScratchSize: 0
; MemoryBound: 0
; FloatMode: 240
; IeeeMode: 1
; LDSByteSize: 72 bytes/workgroup (compile time only)
; SGPRBlocks: 0
; VGPRBlocks: 2
; NumSGPRsForWavesPerEU: 23
; NumVGPRsForWavesPerEU: 17
; Occupancy: 16
; WaveLimiterHint : 0
; COMPUTE_PGM_RSRC2:SCRATCH_EN: 0
; COMPUTE_PGM_RSRC2:USER_SGPR: 6
; COMPUTE_PGM_RSRC2:TRAP_HANDLER: 0
; COMPUTE_PGM_RSRC2:TGID_X_EN: 1
; COMPUTE_PGM_RSRC2:TGID_Y_EN: 0
; COMPUTE_PGM_RSRC2:TGID_Z_EN: 0
; COMPUTE_PGM_RSRC2:TIDIG_COMP_CNT: 0
	.section	.text._Z28addBiasResidualPostLayerNormI6__halfLi1ELi32EEvPT_PKS1_S4_S4_S4_fi,"axG",@progbits,_Z28addBiasResidualPostLayerNormI6__halfLi1ELi32EEvPT_PKS1_S4_S4_S4_fi,comdat
	.protected	_Z28addBiasResidualPostLayerNormI6__halfLi1ELi32EEvPT_PKS1_S4_S4_S4_fi ; -- Begin function _Z28addBiasResidualPostLayerNormI6__halfLi1ELi32EEvPT_PKS1_S4_S4_S4_fi
	.globl	_Z28addBiasResidualPostLayerNormI6__halfLi1ELi32EEvPT_PKS1_S4_S4_S4_fi
	.p2align	8
	.type	_Z28addBiasResidualPostLayerNormI6__halfLi1ELi32EEvPT_PKS1_S4_S4_S4_fi,@function
_Z28addBiasResidualPostLayerNormI6__halfLi1ELi32EEvPT_PKS1_S4_S4_S4_fi: ; @_Z28addBiasResidualPostLayerNormI6__halfLi1ELi32EEvPT_PKS1_S4_S4_S4_fi
; %bb.0:
	s_clause 0x1
	s_load_dwordx2 s[10:11], s[4:5], 0x28
	s_load_dwordx2 s[8:9], s[4:5], 0x0
	v_mov_b32_e32 v5, 0
	v_lshlrev_b32_e32 v1, 1, v0
                                        ; implicit-def: $vgpr2
	s_waitcnt lgkmcnt(0)
	v_cmp_gt_i32_e64 s0, s11, v0
	s_and_saveexec_b32 s1, s0
	s_cbranch_execz .LBB13_2
; %bb.1:
	s_load_dwordx4 s[12:15], s[4:5], 0x8
	v_mad_u64_u32 v[2:3], null, s11, s6, v[0:1]
	v_mov_b32_e32 v3, 0
	v_lshlrev_b64 v[2:3], 1, v[2:3]
	v_add_co_u32 v4, vcc_lo, s8, v2
	v_add_co_ci_u32_e64 v5, null, s9, v3, vcc_lo
	s_waitcnt lgkmcnt(0)
	v_add_co_u32 v2, vcc_lo, s12, v2
	v_add_co_ci_u32_e64 v3, null, s13, v3, vcc_lo
	global_load_ushort v4, v[4:5], off
	global_load_ushort v2, v[2:3], off
	global_load_ushort v3, v1, s[14:15]
	s_waitcnt vmcnt(1)
	v_add_f16_e32 v2, v4, v2
	s_waitcnt vmcnt(0)
	v_add_f16_e32 v2, v2, v3
	v_cvt_f32_f16_e32 v2, v2
	v_add_f32_e32 v5, 0, v2
.LBB13_2:
	s_or_b32 exec_lo, exec_lo, s1
	v_mbcnt_lo_u32_b32 v7, -1, 0
	v_xor_b32_e32 v3, 16, v7
	v_xor_b32_e32 v4, 8, v7
	;; [unrolled: 1-line block ×3, first 2 shown]
	v_cmp_gt_i32_e32 vcc_lo, 32, v3
	v_cndmask_b32_e32 v3, v7, v3, vcc_lo
	v_cmp_gt_i32_e32 vcc_lo, 32, v4
	v_lshlrev_b32_e32 v3, 2, v3
	v_cndmask_b32_e32 v4, v7, v4, vcc_lo
	ds_bpermute_b32 v6, v3, v5
	v_lshlrev_b32_e32 v4, 2, v4
	s_waitcnt lgkmcnt(0)
	v_add_f32_e32 v6, v5, v6
	v_xor_b32_e32 v5, 4, v7
	ds_bpermute_b32 v8, v4, v6
	v_cmp_gt_i32_e32 vcc_lo, 32, v5
	v_cndmask_b32_e32 v5, v7, v5, vcc_lo
	v_lshlrev_b32_e32 v5, 2, v5
	s_waitcnt lgkmcnt(0)
	v_add_f32_e32 v8, v6, v8
	v_xor_b32_e32 v6, 2, v7
	ds_bpermute_b32 v9, v5, v8
	v_cmp_gt_i32_e32 vcc_lo, 32, v6
	v_cndmask_b32_e32 v6, v7, v6, vcc_lo
	v_cmp_gt_i32_e32 vcc_lo, 32, v10
	v_lshlrev_b32_e32 v6, 2, v6
	v_cndmask_b32_e32 v7, v7, v10, vcc_lo
	v_lshlrev_b32_e32 v7, 2, v7
	s_waitcnt lgkmcnt(0)
	v_add_f32_e32 v8, v8, v9
	ds_bpermute_b32 v9, v6, v8
	s_waitcnt lgkmcnt(0)
	v_add_f32_e32 v10, v8, v9
	v_and_b32_e32 v8, 31, v0
	v_lshrrev_b32_e32 v9, 3, v0
	ds_bpermute_b32 v11, v7, v10
	v_cmp_eq_u32_e64 s1, 0, v8
	s_and_saveexec_b32 s2, s1
	s_cbranch_execz .LBB13_4
; %bb.3:
	s_waitcnt lgkmcnt(0)
	v_add_f32_e32 v10, v10, v11
	ds_write_b32 v9, v10
.LBB13_4:
	s_or_b32 exec_lo, exec_lo, s2
	s_waitcnt lgkmcnt(0)
	s_barrier
	buffer_gl0_inv
	s_load_dword s2, s[4:5], 0x3c
	v_mov_b32_e32 v11, 0
	v_lshlrev_b32_e32 v10, 2, v8
	s_waitcnt lgkmcnt(0)
	s_bfe_u32 s2, s2, 0xb0005
	v_cmp_gt_u32_e64 s2, s2, v0
	s_and_saveexec_b32 s3, s2
; %bb.5:
	ds_read_b32 v11, v10
; %bb.6:
	s_or_b32 exec_lo, exec_lo, s3
	s_waitcnt lgkmcnt(0)
	ds_bpermute_b32 v8, v3, v11
	v_cmp_eq_u32_e64 s3, 0, v0
	s_waitcnt lgkmcnt(0)
	v_add_f32_e32 v8, v11, v8
	ds_bpermute_b32 v11, v4, v8
	s_waitcnt lgkmcnt(0)
	v_add_f32_e32 v8, v8, v11
	ds_bpermute_b32 v11, v5, v8
	;; [unrolled: 3-line block ×3, first 2 shown]
	s_waitcnt lgkmcnt(0)
	v_add_f32_e32 v11, v8, v11
	v_cvt_f32_i32_e32 v8, s11
	ds_bpermute_b32 v12, v7, v11
	s_and_saveexec_b32 s7, s3
	s_cbranch_execz .LBB13_8
; %bb.7:
	s_waitcnt lgkmcnt(0)
	v_add_f32_e32 v11, v11, v12
	v_div_scale_f32 v12, null, v8, v8, v11
	v_div_scale_f32 v15, vcc_lo, v11, v8, v11
	v_rcp_f32_e32 v13, v12
	v_fma_f32 v14, -v12, v13, 1.0
	v_fmac_f32_e32 v13, v14, v13
	v_mul_f32_e32 v14, v15, v13
	v_fma_f32 v16, -v12, v14, v15
	v_fmac_f32_e32 v14, v16, v13
	v_fma_f32 v12, -v12, v14, v15
	v_div_fmas_f32 v12, v12, v13, v14
	v_div_fixup_f32 v11, v12, v8, v11
	v_mov_b32_e32 v12, 0
	ds_write_b32 v12, v11 offset:132
.LBB13_8:
	s_or_b32 exec_lo, exec_lo, s7
	v_mov_b32_e32 v11, 0
	s_waitcnt lgkmcnt(0)
	s_barrier
	buffer_gl0_inv
	ds_read_b32 v12, v11 offset:132
	s_waitcnt lgkmcnt(0)
	v_sub_f32_e32 v12, v2, v12
	v_mul_f32_e32 v12, v12, v12
	v_cndmask_b32_e64 v12, 0, v12, s0
	ds_bpermute_b32 v13, v3, v12
	s_waitcnt lgkmcnt(0)
	v_add_f32_e32 v12, v12, v13
	ds_bpermute_b32 v13, v4, v12
	s_waitcnt lgkmcnt(0)
	v_add_f32_e32 v12, v12, v13
	ds_bpermute_b32 v13, v5, v12
	s_waitcnt lgkmcnt(0)
	v_add_f32_e32 v12, v12, v13
	ds_bpermute_b32 v13, v6, v12
	s_waitcnt lgkmcnt(0)
	v_add_f32_e32 v12, v12, v13
	ds_bpermute_b32 v13, v7, v12
	s_and_saveexec_b32 s7, s1
	s_cbranch_execz .LBB13_10
; %bb.9:
	s_waitcnt lgkmcnt(0)
	v_add_f32_e32 v12, v12, v13
	ds_write_b32 v9, v12
.LBB13_10:
	s_or_b32 exec_lo, exec_lo, s7
	s_waitcnt lgkmcnt(0)
	s_barrier
	buffer_gl0_inv
	s_and_saveexec_b32 s1, s2
; %bb.11:
	ds_read_b32 v11, v10
; %bb.12:
	s_or_b32 exec_lo, exec_lo, s1
	s_waitcnt lgkmcnt(0)
	ds_bpermute_b32 v3, v3, v11
	s_waitcnt lgkmcnt(0)
	v_add_f32_e32 v3, v11, v3
	ds_bpermute_b32 v4, v4, v3
	s_waitcnt lgkmcnt(0)
	v_add_f32_e32 v3, v3, v4
	;; [unrolled: 3-line block ×4, first 2 shown]
	ds_bpermute_b32 v4, v7, v3
	s_and_saveexec_b32 s1, s3
	s_cbranch_execz .LBB13_14
; %bb.13:
	s_waitcnt lgkmcnt(0)
	v_add_f32_e32 v3, v3, v4
	v_div_scale_f32 v4, null, v8, v8, v3
	v_div_scale_f32 v7, vcc_lo, v3, v8, v3
	v_rcp_f32_e32 v5, v4
	v_fma_f32 v6, -v4, v5, 1.0
	v_fmac_f32_e32 v5, v6, v5
	v_mul_f32_e32 v6, v7, v5
	v_fma_f32 v9, -v4, v6, v7
	v_fmac_f32_e32 v6, v9, v5
	v_fma_f32 v4, -v4, v6, v7
	v_div_fmas_f32 v4, v4, v5, v6
	v_div_fixup_f32 v3, v4, v8, v3
	v_mov_b32_e32 v4, 0
	v_add_f32_e32 v3, s10, v3
	ds_write_b32 v4, v3 offset:128
.LBB13_14:
	s_or_b32 exec_lo, exec_lo, s1
	s_waitcnt lgkmcnt(0)
	s_barrier
	buffer_gl0_inv
	s_and_saveexec_b32 s1, s0
	s_cbranch_execz .LBB13_16
; %bb.15:
	s_load_dwordx4 s[0:3], s[4:5], 0x18
	v_mov_b32_e32 v7, 0
	s_waitcnt lgkmcnt(0)
	s_clause 0x1
	global_load_ushort v5, v1, s[0:1]
	global_load_ushort v6, v1, s[2:3]
	ds_read_b64 v[3:4], v7 offset:128
	s_waitcnt lgkmcnt(0)
	v_mul_f32_e32 v1, 0x4b800000, v3
	v_cmp_gt_f32_e32 vcc_lo, 0x800000, v3
	v_sub_f32_e32 v2, v2, v4
	v_cndmask_b32_e32 v1, v3, v1, vcc_lo
	v_rsq_f32_e32 v3, v1
	v_mad_u64_u32 v[0:1], null, s11, s6, v[0:1]
	v_mov_b32_e32 v1, v7
	v_lshlrev_b64 v[0:1], 1, v[0:1]
	v_mul_f32_e32 v8, 0x45800000, v3
	v_cndmask_b32_e32 v3, v3, v8, vcc_lo
	v_add_co_u32 v0, vcc_lo, s8, v0
	v_add_co_ci_u32_e64 v1, null, s9, v1, vcc_lo
	v_mul_f32_e32 v2, v2, v3
	s_waitcnt vmcnt(0)
	v_fma_mixlo_f16 v2, v2, v5, v6 op_sel_hi:[0,1,1]
	global_store_short v[0:1], v2, off
.LBB13_16:
	s_endpgm
	.section	.rodata,"a",@progbits
	.p2align	6, 0x0
	.amdhsa_kernel _Z28addBiasResidualPostLayerNormI6__halfLi1ELi32EEvPT_PKS1_S4_S4_S4_fi
		.amdhsa_group_segment_fixed_size 136
		.amdhsa_private_segment_fixed_size 0
		.amdhsa_kernarg_size 304
		.amdhsa_user_sgpr_count 6
		.amdhsa_user_sgpr_private_segment_buffer 1
		.amdhsa_user_sgpr_dispatch_ptr 0
		.amdhsa_user_sgpr_queue_ptr 0
		.amdhsa_user_sgpr_kernarg_segment_ptr 1
		.amdhsa_user_sgpr_dispatch_id 0
		.amdhsa_user_sgpr_flat_scratch_init 0
		.amdhsa_user_sgpr_private_segment_size 0
		.amdhsa_wavefront_size32 1
		.amdhsa_uses_dynamic_stack 0
		.amdhsa_system_sgpr_private_segment_wavefront_offset 0
		.amdhsa_system_sgpr_workgroup_id_x 1
		.amdhsa_system_sgpr_workgroup_id_y 0
		.amdhsa_system_sgpr_workgroup_id_z 0
		.amdhsa_system_sgpr_workgroup_info 0
		.amdhsa_system_vgpr_workitem_id 0
		.amdhsa_next_free_vgpr 17
		.amdhsa_next_free_sgpr 16
		.amdhsa_reserve_vcc 1
		.amdhsa_reserve_flat_scratch 0
		.amdhsa_float_round_mode_32 0
		.amdhsa_float_round_mode_16_64 0
		.amdhsa_float_denorm_mode_32 3
		.amdhsa_float_denorm_mode_16_64 3
		.amdhsa_dx10_clamp 1
		.amdhsa_ieee_mode 1
		.amdhsa_fp16_overflow 0
		.amdhsa_workgroup_processor_mode 1
		.amdhsa_memory_ordered 1
		.amdhsa_forward_progress 1
		.amdhsa_shared_vgpr_count 0
		.amdhsa_exception_fp_ieee_invalid_op 0
		.amdhsa_exception_fp_denorm_src 0
		.amdhsa_exception_fp_ieee_div_zero 0
		.amdhsa_exception_fp_ieee_overflow 0
		.amdhsa_exception_fp_ieee_underflow 0
		.amdhsa_exception_fp_ieee_inexact 0
		.amdhsa_exception_int_div_zero 0
	.end_amdhsa_kernel
	.section	.text._Z28addBiasResidualPostLayerNormI6__halfLi1ELi32EEvPT_PKS1_S4_S4_S4_fi,"axG",@progbits,_Z28addBiasResidualPostLayerNormI6__halfLi1ELi32EEvPT_PKS1_S4_S4_S4_fi,comdat
.Lfunc_end13:
	.size	_Z28addBiasResidualPostLayerNormI6__halfLi1ELi32EEvPT_PKS1_S4_S4_S4_fi, .Lfunc_end13-_Z28addBiasResidualPostLayerNormI6__halfLi1ELi32EEvPT_PKS1_S4_S4_S4_fi
                                        ; -- End function
	.set _Z28addBiasResidualPostLayerNormI6__halfLi1ELi32EEvPT_PKS1_S4_S4_S4_fi.num_vgpr, 17
	.set _Z28addBiasResidualPostLayerNormI6__halfLi1ELi32EEvPT_PKS1_S4_S4_S4_fi.num_agpr, 0
	.set _Z28addBiasResidualPostLayerNormI6__halfLi1ELi32EEvPT_PKS1_S4_S4_S4_fi.numbered_sgpr, 16
	.set _Z28addBiasResidualPostLayerNormI6__halfLi1ELi32EEvPT_PKS1_S4_S4_S4_fi.num_named_barrier, 0
	.set _Z28addBiasResidualPostLayerNormI6__halfLi1ELi32EEvPT_PKS1_S4_S4_S4_fi.private_seg_size, 0
	.set _Z28addBiasResidualPostLayerNormI6__halfLi1ELi32EEvPT_PKS1_S4_S4_S4_fi.uses_vcc, 1
	.set _Z28addBiasResidualPostLayerNormI6__halfLi1ELi32EEvPT_PKS1_S4_S4_S4_fi.uses_flat_scratch, 0
	.set _Z28addBiasResidualPostLayerNormI6__halfLi1ELi32EEvPT_PKS1_S4_S4_S4_fi.has_dyn_sized_stack, 0
	.set _Z28addBiasResidualPostLayerNormI6__halfLi1ELi32EEvPT_PKS1_S4_S4_S4_fi.has_recursion, 0
	.set _Z28addBiasResidualPostLayerNormI6__halfLi1ELi32EEvPT_PKS1_S4_S4_S4_fi.has_indirect_call, 0
	.section	.AMDGPU.csdata,"",@progbits
; Kernel info:
; codeLenInByte = 1168
; TotalNumSgprs: 18
; NumVgprs: 17
; ScratchSize: 0
; MemoryBound: 0
; FloatMode: 240
; IeeeMode: 1
; LDSByteSize: 136 bytes/workgroup (compile time only)
; SGPRBlocks: 0
; VGPRBlocks: 2
; NumSGPRsForWavesPerEU: 18
; NumVGPRsForWavesPerEU: 17
; Occupancy: 16
; WaveLimiterHint : 0
; COMPUTE_PGM_RSRC2:SCRATCH_EN: 0
; COMPUTE_PGM_RSRC2:USER_SGPR: 6
; COMPUTE_PGM_RSRC2:TRAP_HANDLER: 0
; COMPUTE_PGM_RSRC2:TGID_X_EN: 1
; COMPUTE_PGM_RSRC2:TGID_Y_EN: 0
; COMPUTE_PGM_RSRC2:TGID_Z_EN: 0
; COMPUTE_PGM_RSRC2:TIDIG_COMP_CNT: 0
	.section	.text._Z28addBiasResidualPostLayerNormI6__halfLi2ELi32EEvPT_PKS1_S4_S4_S4_fi,"axG",@progbits,_Z28addBiasResidualPostLayerNormI6__halfLi2ELi32EEvPT_PKS1_S4_S4_S4_fi,comdat
	.protected	_Z28addBiasResidualPostLayerNormI6__halfLi2ELi32EEvPT_PKS1_S4_S4_S4_fi ; -- Begin function _Z28addBiasResidualPostLayerNormI6__halfLi2ELi32EEvPT_PKS1_S4_S4_S4_fi
	.globl	_Z28addBiasResidualPostLayerNormI6__halfLi2ELi32EEvPT_PKS1_S4_S4_S4_fi
	.p2align	8
	.type	_Z28addBiasResidualPostLayerNormI6__halfLi2ELi32EEvPT_PKS1_S4_S4_S4_fi,@function
_Z28addBiasResidualPostLayerNormI6__halfLi2ELi32EEvPT_PKS1_S4_S4_S4_fi: ; @_Z28addBiasResidualPostLayerNormI6__halfLi2ELi32EEvPT_PKS1_S4_S4_S4_fi
; %bb.0:
	s_clause 0x1
	s_load_dwordx2 s[14:15], s[4:5], 0x28
	s_load_dwordx2 s[12:13], s[4:5], 0x0
	v_mov_b32_e32 v6, 0
	v_mov_b32_e32 v3, 0
	v_lshlrev_b32_e32 v7, 1, v0
	v_mov_b32_e32 v2, v6
	s_waitcnt lgkmcnt(0)
	s_mul_i32 s6, s15, s6
	v_cmp_gt_i32_e64 s0, s15, v0
	v_add_nc_u32_e32 v1, s6, v0
	s_and_saveexec_b32 s1, s0
	s_cbranch_execz .LBB14_4
; %bb.1:
	s_clause 0x1
	s_load_dwordx4 s[8:11], s[4:5], 0x8
	s_load_dword s2, s[4:5], 0x3c
	v_mov_b32_e32 v2, 0
	v_lshlrev_b64 v[3:4], 1, v[1:2]
	v_add_co_u32 v5, vcc_lo, s12, v3
	v_add_co_ci_u32_e64 v6, null, s13, v4, vcc_lo
	s_waitcnt lgkmcnt(0)
	v_add_co_u32 v3, vcc_lo, s8, v3
	v_add_co_ci_u32_e64 v4, null, s9, v4, vcc_lo
	s_and_b32 s3, s2, 0xffff
	s_mov_b32 s2, exec_lo
	global_load_ushort v5, v[5:6], off
	global_load_ushort v3, v[3:4], off
	global_load_ushort v4, v7, s[10:11]
	s_waitcnt vmcnt(1)
	v_add_f16_e32 v3, v5, v3
	s_waitcnt vmcnt(0)
	v_add_f16_e32 v3, v3, v4
	v_add_nc_u32_e32 v4, s3, v0
	v_cvt_f32_f16_e32 v3, v3
	v_add_f32_e32 v6, 0, v3
	v_cmpx_gt_u32_e64 s15, v4
	s_cbranch_execz .LBB14_3
; %bb.2:
	v_add_nc_u32_e32 v4, s6, v4
	v_mov_b32_e32 v5, 0
	v_add_co_u32 v2, s7, s10, v7
	v_add_co_ci_u32_e64 v10, null, s11, 0, s7
	v_lshlrev_b64 v[4:5], 1, v[4:5]
	s_lshl_b32 s3, s3, 1
	v_add_co_u32 v8, vcc_lo, s12, v4
	v_add_co_ci_u32_e64 v9, null, s13, v5, vcc_lo
	v_add_co_u32 v4, vcc_lo, s8, v4
	v_add_co_ci_u32_e64 v5, null, s9, v5, vcc_lo
	global_load_ushort v8, v[8:9], off
	global_load_ushort v9, v[4:5], off
	v_add_co_u32 v4, vcc_lo, v2, s3
	v_add_co_ci_u32_e64 v5, null, 0, v10, vcc_lo
	global_load_ushort v2, v[4:5], off
	s_waitcnt vmcnt(1)
	v_add_f16_e32 v4, v8, v9
	s_waitcnt vmcnt(0)
	v_add_f16_e32 v2, v4, v2
	v_cvt_f32_f16_e32 v2, v2
	v_add_f32_e32 v6, v6, v2
.LBB14_3:
	s_or_b32 exec_lo, exec_lo, s2
.LBB14_4:
	s_or_b32 exec_lo, exec_lo, s1
	v_mbcnt_lo_u32_b32 v9, -1, 0
	v_xor_b32_e32 v4, 16, v9
	v_xor_b32_e32 v5, 8, v9
	;; [unrolled: 1-line block ×3, first 2 shown]
	v_cmp_gt_i32_e32 vcc_lo, 32, v4
	v_cndmask_b32_e32 v4, v9, v4, vcc_lo
	v_cmp_gt_i32_e32 vcc_lo, 32, v5
	v_lshlrev_b32_e32 v4, 2, v4
	v_cndmask_b32_e32 v5, v9, v5, vcc_lo
	ds_bpermute_b32 v8, v4, v6
	v_lshlrev_b32_e32 v5, 2, v5
	s_waitcnt lgkmcnt(0)
	v_add_f32_e32 v8, v6, v8
	v_xor_b32_e32 v6, 4, v9
	ds_bpermute_b32 v10, v5, v8
	v_cmp_gt_i32_e32 vcc_lo, 32, v6
	v_cndmask_b32_e32 v6, v9, v6, vcc_lo
	v_lshlrev_b32_e32 v6, 2, v6
	s_waitcnt lgkmcnt(0)
	v_add_f32_e32 v10, v8, v10
	v_xor_b32_e32 v8, 2, v9
	ds_bpermute_b32 v11, v6, v10
	v_cmp_gt_i32_e32 vcc_lo, 32, v8
	v_cndmask_b32_e32 v8, v9, v8, vcc_lo
	v_cmp_gt_i32_e32 vcc_lo, 32, v12
	v_lshlrev_b32_e32 v8, 2, v8
	v_cndmask_b32_e32 v9, v9, v12, vcc_lo
	v_lshlrev_b32_e32 v9, 2, v9
	s_waitcnt lgkmcnt(0)
	v_add_f32_e32 v10, v10, v11
	ds_bpermute_b32 v11, v8, v10
	s_waitcnt lgkmcnt(0)
	v_add_f32_e32 v12, v10, v11
	v_and_b32_e32 v10, 31, v0
	v_lshrrev_b32_e32 v11, 3, v0
	ds_bpermute_b32 v13, v9, v12
	v_cmp_eq_u32_e64 s1, 0, v10
	s_and_saveexec_b32 s2, s1
	s_cbranch_execz .LBB14_6
; %bb.5:
	s_waitcnt lgkmcnt(0)
	v_add_f32_e32 v12, v12, v13
	ds_write_b32 v11, v12
.LBB14_6:
	s_or_b32 exec_lo, exec_lo, s2
	s_waitcnt lgkmcnt(0)
	s_barrier
	buffer_gl0_inv
	s_load_dword s7, s[4:5], 0x3c
	v_mov_b32_e32 v13, 0
	v_lshlrev_b32_e32 v12, 2, v10
	s_waitcnt lgkmcnt(0)
	s_bfe_u32 s2, s7, 0xb0005
	v_cmp_gt_u32_e64 s2, s2, v0
	s_and_saveexec_b32 s3, s2
; %bb.7:
	ds_read_b32 v13, v12
; %bb.8:
	s_or_b32 exec_lo, exec_lo, s3
	s_waitcnt lgkmcnt(0)
	ds_bpermute_b32 v10, v4, v13
	v_cmp_eq_u32_e64 s3, 0, v0
	s_waitcnt lgkmcnt(0)
	v_add_f32_e32 v10, v13, v10
	ds_bpermute_b32 v13, v5, v10
	s_waitcnt lgkmcnt(0)
	v_add_f32_e32 v10, v10, v13
	ds_bpermute_b32 v13, v6, v10
	s_waitcnt lgkmcnt(0)
	v_add_f32_e32 v10, v10, v13
	ds_bpermute_b32 v13, v8, v10
	s_waitcnt lgkmcnt(0)
	v_add_f32_e32 v13, v10, v13
	v_cvt_f32_i32_e32 v10, s15
	ds_bpermute_b32 v14, v9, v13
	s_and_saveexec_b32 s8, s3
	s_cbranch_execz .LBB14_10
; %bb.9:
	s_waitcnt lgkmcnt(0)
	v_add_f32_e32 v13, v13, v14
	v_div_scale_f32 v14, null, v10, v10, v13
	v_div_scale_f32 v17, vcc_lo, v13, v10, v13
	v_rcp_f32_e32 v15, v14
	v_fma_f32 v16, -v14, v15, 1.0
	v_fmac_f32_e32 v15, v16, v15
	v_mul_f32_e32 v16, v17, v15
	v_fma_f32 v18, -v14, v16, v17
	v_fmac_f32_e32 v16, v18, v15
	v_fma_f32 v14, -v14, v16, v17
	v_div_fmas_f32 v14, v14, v15, v16
	v_div_fixup_f32 v13, v14, v10, v13
	v_mov_b32_e32 v14, 0
	ds_write_b32 v14, v13 offset:132
.LBB14_10:
	s_or_b32 exec_lo, exec_lo, s8
	s_and_b32 s7, 0xffff, s7
	v_mov_b32_e32 v13, 0
	v_add_nc_u32_e32 v0, s7, v0
	s_waitcnt lgkmcnt(0)
	s_barrier
	buffer_gl0_inv
	s_and_saveexec_b32 s8, s0
	s_cbranch_execz .LBB14_12
; %bb.11:
	v_mov_b32_e32 v13, 0
	v_cmp_gt_u32_e32 vcc_lo, s15, v0
	ds_read_b32 v13, v13 offset:132
	s_waitcnt lgkmcnt(0)
	v_sub_f32_e32 v14, v3, v13
	v_sub_f32_e32 v13, v2, v13
	v_mul_f32_e32 v14, v14, v14
	v_fma_f32 v13, v13, v13, v14
	v_cndmask_b32_e32 v13, v14, v13, vcc_lo
.LBB14_12:
	s_or_b32 exec_lo, exec_lo, s8
	ds_bpermute_b32 v14, v4, v13
	s_waitcnt lgkmcnt(0)
	v_add_f32_e32 v13, v13, v14
	ds_bpermute_b32 v14, v5, v13
	s_waitcnt lgkmcnt(0)
	v_add_f32_e32 v13, v13, v14
	;; [unrolled: 3-line block ×4, first 2 shown]
	ds_bpermute_b32 v14, v9, v13
	s_and_saveexec_b32 s8, s1
	s_cbranch_execz .LBB14_14
; %bb.13:
	s_waitcnt lgkmcnt(0)
	v_add_f32_e32 v13, v13, v14
	ds_write_b32 v11, v13
.LBB14_14:
	s_or_b32 exec_lo, exec_lo, s8
	v_mov_b32_e32 v11, 0
	s_waitcnt lgkmcnt(0)
	s_barrier
	buffer_gl0_inv
	s_and_saveexec_b32 s1, s2
; %bb.15:
	ds_read_b32 v11, v12
; %bb.16:
	s_or_b32 exec_lo, exec_lo, s1
	s_waitcnt lgkmcnt(0)
	ds_bpermute_b32 v4, v4, v11
	s_waitcnt lgkmcnt(0)
	v_add_f32_e32 v4, v11, v4
	ds_bpermute_b32 v5, v5, v4
	s_waitcnt lgkmcnt(0)
	v_add_f32_e32 v4, v4, v5
	;; [unrolled: 3-line block ×4, first 2 shown]
	ds_bpermute_b32 v5, v9, v4
	s_and_saveexec_b32 s1, s3
	s_cbranch_execz .LBB14_18
; %bb.17:
	s_waitcnt lgkmcnt(0)
	v_add_f32_e32 v4, v4, v5
	v_div_scale_f32 v5, null, v10, v10, v4
	v_div_scale_f32 v9, vcc_lo, v4, v10, v4
	v_rcp_f32_e32 v6, v5
	v_fma_f32 v8, -v5, v6, 1.0
	v_fmac_f32_e32 v6, v8, v6
	v_mul_f32_e32 v8, v9, v6
	v_fma_f32 v11, -v5, v8, v9
	v_fmac_f32_e32 v8, v11, v6
	v_fma_f32 v5, -v5, v8, v9
	v_div_fmas_f32 v5, v5, v6, v8
	v_div_fixup_f32 v4, v5, v10, v4
	v_mov_b32_e32 v5, 0
	v_add_f32_e32 v4, s14, v4
	ds_write_b32 v5, v4 offset:128
.LBB14_18:
	s_or_b32 exec_lo, exec_lo, s1
	s_waitcnt lgkmcnt(0)
	s_barrier
	buffer_gl0_inv
	s_and_saveexec_b32 s1, s0
	s_cbranch_execz .LBB14_21
; %bb.19:
	s_load_dwordx4 s[0:3], s[4:5], 0x18
	v_mov_b32_e32 v4, 0
	s_waitcnt lgkmcnt(0)
	s_clause 0x1
	global_load_ushort v10, v7, s[0:1]
	global_load_ushort v11, v7, s[2:3]
	ds_read_b64 v[5:6], v4 offset:128
	s_waitcnt lgkmcnt(0)
	v_mul_f32_e32 v8, 0x4b800000, v5
	v_cmp_gt_f32_e32 vcc_lo, 0x800000, v5
	v_sub_f32_e32 v9, v3, v6
	v_mov_b32_e32 v3, v1
	v_cndmask_b32_e32 v5, v5, v8, vcc_lo
	v_rsq_f32_e32 v5, v5
	v_mul_f32_e32 v8, 0x45800000, v5
	v_cndmask_b32_e32 v5, v5, v8, vcc_lo
	v_mul_f32_e32 v1, v9, v5
	v_lshlrev_b64 v[8:9], 1, v[3:4]
	v_add_co_u32 v8, vcc_lo, s12, v8
	v_add_co_ci_u32_e64 v9, null, s13, v9, vcc_lo
	v_cmp_gt_u32_e32 vcc_lo, s15, v0
	s_waitcnt vmcnt(0)
	v_fma_mixlo_f16 v1, v1, v10, v11 op_sel_hi:[0,1,1]
	global_store_short v[8:9], v1, off
	s_and_b32 exec_lo, exec_lo, vcc_lo
	s_cbranch_execz .LBB14_21
; %bb.20:
	v_add_co_u32 v1, s0, s0, v7
	v_add_co_ci_u32_e64 v3, null, s1, 0, s0
	v_add_co_u32 v9, s0, s2, v7
	v_add_co_ci_u32_e64 v10, null, s3, 0, s0
	s_lshl_b32 s0, s7, 1
	v_add_co_u32 v7, vcc_lo, v1, s0
	v_add_co_ci_u32_e64 v8, null, 0, v3, vcc_lo
	v_add_co_u32 v9, vcc_lo, v9, s0
	v_add_co_ci_u32_e64 v10, null, 0, v10, vcc_lo
	global_load_ushort v7, v[7:8], off
	global_load_ushort v8, v[9:10], off
	v_sub_f32_e32 v1, v2, v6
	v_add_nc_u32_e32 v3, s6, v0
	v_mul_f32_e32 v2, v1, v5
	v_lshlrev_b64 v[0:1], 1, v[3:4]
	v_add_co_u32 v0, vcc_lo, s12, v0
	v_add_co_ci_u32_e64 v1, null, s13, v1, vcc_lo
	s_waitcnt vmcnt(0)
	v_fma_mixlo_f16 v2, v2, v7, v8 op_sel_hi:[0,1,1]
	global_store_short v[0:1], v2, off
.LBB14_21:
	s_endpgm
	.section	.rodata,"a",@progbits
	.p2align	6, 0x0
	.amdhsa_kernel _Z28addBiasResidualPostLayerNormI6__halfLi2ELi32EEvPT_PKS1_S4_S4_S4_fi
		.amdhsa_group_segment_fixed_size 136
		.amdhsa_private_segment_fixed_size 0
		.amdhsa_kernarg_size 304
		.amdhsa_user_sgpr_count 6
		.amdhsa_user_sgpr_private_segment_buffer 1
		.amdhsa_user_sgpr_dispatch_ptr 0
		.amdhsa_user_sgpr_queue_ptr 0
		.amdhsa_user_sgpr_kernarg_segment_ptr 1
		.amdhsa_user_sgpr_dispatch_id 0
		.amdhsa_user_sgpr_flat_scratch_init 0
		.amdhsa_user_sgpr_private_segment_size 0
		.amdhsa_wavefront_size32 1
		.amdhsa_uses_dynamic_stack 0
		.amdhsa_system_sgpr_private_segment_wavefront_offset 0
		.amdhsa_system_sgpr_workgroup_id_x 1
		.amdhsa_system_sgpr_workgroup_id_y 0
		.amdhsa_system_sgpr_workgroup_id_z 0
		.amdhsa_system_sgpr_workgroup_info 0
		.amdhsa_system_vgpr_workitem_id 0
		.amdhsa_next_free_vgpr 19
		.amdhsa_next_free_sgpr 16
		.amdhsa_reserve_vcc 1
		.amdhsa_reserve_flat_scratch 0
		.amdhsa_float_round_mode_32 0
		.amdhsa_float_round_mode_16_64 0
		.amdhsa_float_denorm_mode_32 3
		.amdhsa_float_denorm_mode_16_64 3
		.amdhsa_dx10_clamp 1
		.amdhsa_ieee_mode 1
		.amdhsa_fp16_overflow 0
		.amdhsa_workgroup_processor_mode 1
		.amdhsa_memory_ordered 1
		.amdhsa_forward_progress 1
		.amdhsa_shared_vgpr_count 0
		.amdhsa_exception_fp_ieee_invalid_op 0
		.amdhsa_exception_fp_denorm_src 0
		.amdhsa_exception_fp_ieee_div_zero 0
		.amdhsa_exception_fp_ieee_overflow 0
		.amdhsa_exception_fp_ieee_underflow 0
		.amdhsa_exception_fp_ieee_inexact 0
		.amdhsa_exception_int_div_zero 0
	.end_amdhsa_kernel
	.section	.text._Z28addBiasResidualPostLayerNormI6__halfLi2ELi32EEvPT_PKS1_S4_S4_S4_fi,"axG",@progbits,_Z28addBiasResidualPostLayerNormI6__halfLi2ELi32EEvPT_PKS1_S4_S4_S4_fi,comdat
.Lfunc_end14:
	.size	_Z28addBiasResidualPostLayerNormI6__halfLi2ELi32EEvPT_PKS1_S4_S4_S4_fi, .Lfunc_end14-_Z28addBiasResidualPostLayerNormI6__halfLi2ELi32EEvPT_PKS1_S4_S4_S4_fi
                                        ; -- End function
	.set _Z28addBiasResidualPostLayerNormI6__halfLi2ELi32EEvPT_PKS1_S4_S4_S4_fi.num_vgpr, 19
	.set _Z28addBiasResidualPostLayerNormI6__halfLi2ELi32EEvPT_PKS1_S4_S4_S4_fi.num_agpr, 0
	.set _Z28addBiasResidualPostLayerNormI6__halfLi2ELi32EEvPT_PKS1_S4_S4_S4_fi.numbered_sgpr, 16
	.set _Z28addBiasResidualPostLayerNormI6__halfLi2ELi32EEvPT_PKS1_S4_S4_S4_fi.num_named_barrier, 0
	.set _Z28addBiasResidualPostLayerNormI6__halfLi2ELi32EEvPT_PKS1_S4_S4_S4_fi.private_seg_size, 0
	.set _Z28addBiasResidualPostLayerNormI6__halfLi2ELi32EEvPT_PKS1_S4_S4_S4_fi.uses_vcc, 1
	.set _Z28addBiasResidualPostLayerNormI6__halfLi2ELi32EEvPT_PKS1_S4_S4_S4_fi.uses_flat_scratch, 0
	.set _Z28addBiasResidualPostLayerNormI6__halfLi2ELi32EEvPT_PKS1_S4_S4_S4_fi.has_dyn_sized_stack, 0
	.set _Z28addBiasResidualPostLayerNormI6__halfLi2ELi32EEvPT_PKS1_S4_S4_S4_fi.has_recursion, 0
	.set _Z28addBiasResidualPostLayerNormI6__halfLi2ELi32EEvPT_PKS1_S4_S4_S4_fi.has_indirect_call, 0
	.section	.AMDGPU.csdata,"",@progbits
; Kernel info:
; codeLenInByte = 1540
; TotalNumSgprs: 18
; NumVgprs: 19
; ScratchSize: 0
; MemoryBound: 0
; FloatMode: 240
; IeeeMode: 1
; LDSByteSize: 136 bytes/workgroup (compile time only)
; SGPRBlocks: 0
; VGPRBlocks: 2
; NumSGPRsForWavesPerEU: 18
; NumVGPRsForWavesPerEU: 19
; Occupancy: 16
; WaveLimiterHint : 0
; COMPUTE_PGM_RSRC2:SCRATCH_EN: 0
; COMPUTE_PGM_RSRC2:USER_SGPR: 6
; COMPUTE_PGM_RSRC2:TRAP_HANDLER: 0
; COMPUTE_PGM_RSRC2:TGID_X_EN: 1
; COMPUTE_PGM_RSRC2:TGID_Y_EN: 0
; COMPUTE_PGM_RSRC2:TGID_Z_EN: 0
; COMPUTE_PGM_RSRC2:TIDIG_COMP_CNT: 0
	.section	.text._Z35generalAddBiasResidualPostLayerNormI6__halfLi32EEvPT_PKS1_S4_S4_S4_fi,"axG",@progbits,_Z35generalAddBiasResidualPostLayerNormI6__halfLi32EEvPT_PKS1_S4_S4_S4_fi,comdat
	.protected	_Z35generalAddBiasResidualPostLayerNormI6__halfLi32EEvPT_PKS1_S4_S4_S4_fi ; -- Begin function _Z35generalAddBiasResidualPostLayerNormI6__halfLi32EEvPT_PKS1_S4_S4_S4_fi
	.globl	_Z35generalAddBiasResidualPostLayerNormI6__halfLi32EEvPT_PKS1_S4_S4_S4_fi
	.p2align	8
	.type	_Z35generalAddBiasResidualPostLayerNormI6__halfLi32EEvPT_PKS1_S4_S4_S4_fi,@function
_Z35generalAddBiasResidualPostLayerNormI6__halfLi32EEvPT_PKS1_S4_S4_S4_fi: ; @_Z35generalAddBiasResidualPostLayerNormI6__halfLi32EEvPT_PKS1_S4_S4_S4_fi
; %bb.0:
	s_clause 0x2
	s_load_dwordx2 s[18:19], s[4:5], 0x28
	s_load_dwordx2 s[16:17], s[4:5], 0x0
	s_load_dwordx4 s[8:11], s[4:5], 0x18
	v_mov_b32_e32 v4, 0
	v_lshlrev_b32_e32 v3, 2, v0
	s_waitcnt lgkmcnt(0)
	s_lshr_b32 s0, s19, 31
	s_mul_i32 s6, s19, s6
	s_add_i32 s0, s19, s0
	s_ashr_i32 s7, s0, 1
	v_cmp_gt_i32_e64 s0, s7, v0
	s_and_saveexec_b32 s2, s0
	s_cbranch_execz .LBB15_4
; %bb.1:
	s_clause 0x1
	s_load_dwordx4 s[12:15], s[4:5], 0x8
	s_load_dword s1, s[4:5], 0x3c
	v_mov_b32_e32 v4, 0
	v_mov_b32_e32 v5, v0
	s_lshr_b32 s3, s6, 1
	s_waitcnt lgkmcnt(0)
	v_add_co_u32 v1, s14, s14, v3
	v_add_co_ci_u32_e64 v2, null, s15, 0, s14
	s_and_b32 s15, s1, 0xffff
	s_mov_b32 s14, 0
	s_lshl_b32 s20, s15, 2
	s_inst_prefetch 0x1
	.p2align	6
.LBB15_2:                               ; =>This Inner Loop Header: Depth=1
	v_add_nc_u32_e32 v6, s3, v5
	v_add_nc_u32_e32 v5, s15, v5
	v_ashrrev_i32_e32 v7, 31, v6
	v_cmp_le_i32_e64 s1, s7, v5
	v_lshlrev_b64 v[6:7], 2, v[6:7]
	s_or_b32 s14, s1, s14
	v_add_co_u32 v8, vcc_lo, s16, v6
	v_add_co_ci_u32_e64 v9, null, s17, v7, vcc_lo
	v_add_co_u32 v6, vcc_lo, s12, v6
	v_add_co_ci_u32_e64 v7, null, s13, v7, vcc_lo
	global_load_dword v10, v[8:9], off
	global_load_dword v6, v[6:7], off
	;; [unrolled: 1-line block ×3, first 2 shown]
	v_add_co_u32 v1, vcc_lo, v1, s20
	v_add_co_ci_u32_e64 v2, null, 0, v2, vcc_lo
	s_waitcnt vmcnt(1)
	v_pk_add_f16 v6, v10, v6
	s_waitcnt vmcnt(0)
	v_pk_add_f16 v6, v6, v7
	v_cvt_f32_f16_e32 v7, v6
	v_cvt_f32_f16_sdwa v10, v6 dst_sel:DWORD dst_unused:UNUSED_PAD src0_sel:WORD_1
	global_store_dword v[8:9], v6, off
	v_add_f32_e32 v4, v4, v7
	v_add_f32_e32 v4, v4, v10
	s_andn2_b32 exec_lo, exec_lo, s14
	s_cbranch_execnz .LBB15_2
; %bb.3:
	s_inst_prefetch 0x2
	s_or_b32 exec_lo, exec_lo, s14
.LBB15_4:
	s_or_b32 exec_lo, exec_lo, s2
	v_mbcnt_lo_u32_b32 v6, -1, 0
	v_xor_b32_e32 v1, 16, v6
	v_xor_b32_e32 v2, 8, v6
	v_xor_b32_e32 v9, 1, v6
	v_cmp_gt_i32_e32 vcc_lo, 32, v1
	v_cndmask_b32_e32 v1, v6, v1, vcc_lo
	v_cmp_gt_i32_e32 vcc_lo, 32, v2
	v_lshlrev_b32_e32 v1, 2, v1
	v_cndmask_b32_e32 v2, v6, v2, vcc_lo
	ds_bpermute_b32 v5, v1, v4
	v_lshlrev_b32_e32 v2, 2, v2
	s_waitcnt lgkmcnt(0)
	v_add_f32_e32 v5, v4, v5
	v_xor_b32_e32 v4, 4, v6
	ds_bpermute_b32 v7, v2, v5
	v_cmp_gt_i32_e32 vcc_lo, 32, v4
	v_cndmask_b32_e32 v4, v6, v4, vcc_lo
	v_lshlrev_b32_e32 v4, 2, v4
	s_waitcnt lgkmcnt(0)
	v_add_f32_e32 v7, v5, v7
	v_xor_b32_e32 v5, 2, v6
	ds_bpermute_b32 v8, v4, v7
	v_cmp_gt_i32_e32 vcc_lo, 32, v5
	v_cndmask_b32_e32 v5, v6, v5, vcc_lo
	v_cmp_gt_i32_e32 vcc_lo, 32, v9
	v_lshlrev_b32_e32 v5, 2, v5
	v_cndmask_b32_e32 v6, v6, v9, vcc_lo
	v_lshlrev_b32_e32 v6, 2, v6
	s_waitcnt lgkmcnt(0)
	v_add_f32_e32 v7, v7, v8
	ds_bpermute_b32 v8, v5, v7
	s_waitcnt lgkmcnt(0)
	v_add_f32_e32 v9, v7, v8
	v_and_b32_e32 v7, 31, v0
	v_lshrrev_b32_e32 v8, 3, v0
	ds_bpermute_b32 v10, v6, v9
	v_cmp_eq_u32_e64 s1, 0, v7
	s_and_saveexec_b32 s2, s1
	s_cbranch_execz .LBB15_6
; %bb.5:
	s_waitcnt lgkmcnt(0)
	v_add_f32_e32 v9, v9, v10
	ds_write_b32 v8, v9
.LBB15_6:
	s_or_b32 exec_lo, exec_lo, s2
	s_waitcnt lgkmcnt(0)
	s_waitcnt_vscnt null, 0x0
	s_barrier
	buffer_gl0_inv
	s_load_dword s4, s[4:5], 0x3c
	v_mov_b32_e32 v10, 0
	v_lshlrev_b32_e32 v9, 2, v7
	s_waitcnt lgkmcnt(0)
	s_bfe_u32 s2, s4, 0xb0005
	v_cmp_gt_u32_e64 s2, s2, v0
	s_and_saveexec_b32 s3, s2
; %bb.7:
	ds_read_b32 v10, v9
; %bb.8:
	s_or_b32 exec_lo, exec_lo, s3
	s_waitcnt lgkmcnt(0)
	ds_bpermute_b32 v7, v1, v10
	v_cmp_eq_u32_e64 s3, 0, v0
	s_waitcnt lgkmcnt(0)
	v_add_f32_e32 v7, v10, v7
	ds_bpermute_b32 v10, v2, v7
	s_waitcnt lgkmcnt(0)
	v_add_f32_e32 v7, v7, v10
	ds_bpermute_b32 v10, v4, v7
	;; [unrolled: 3-line block ×3, first 2 shown]
	s_waitcnt lgkmcnt(0)
	v_add_f32_e32 v10, v7, v10
	v_cvt_f32_i32_e32 v7, s19
	ds_bpermute_b32 v11, v6, v10
	s_and_saveexec_b32 s5, s3
	s_cbranch_execz .LBB15_10
; %bb.9:
	s_waitcnt lgkmcnt(0)
	v_add_f32_e32 v10, v10, v11
	v_div_scale_f32 v11, null, v7, v7, v10
	v_div_scale_f32 v14, vcc_lo, v10, v7, v10
	v_rcp_f32_e32 v12, v11
	v_fma_f32 v13, -v11, v12, 1.0
	v_fmac_f32_e32 v12, v13, v12
	v_mul_f32_e32 v13, v14, v12
	v_fma_f32 v15, -v11, v13, v14
	v_fmac_f32_e32 v13, v15, v12
	v_fma_f32 v11, -v11, v13, v14
	v_div_fmas_f32 v11, v11, v12, v13
	v_div_fixup_f32 v10, v11, v7, v10
	v_mov_b32_e32 v11, 0
	ds_write_b32 v11, v10 offset:132
.LBB15_10:
	s_or_b32 exec_lo, exec_lo, s5
	v_mov_b32_e32 v10, 0
	s_and_b32 s4, 0xffff, s4
	s_waitcnt lgkmcnt(0)
	s_barrier
	buffer_gl0_inv
	s_and_saveexec_b32 s5, s0
	s_cbranch_execz .LBB15_14
; %bb.11:
	v_mov_b32_e32 v10, 0
	v_mov_b32_e32 v12, v0
	s_lshr_b32 s13, s6, 1
	s_mov_b32 s12, 0
	ds_read_b32 v11, v10 offset:132
	.p2align	6
.LBB15_12:                              ; =>This Inner Loop Header: Depth=1
	v_add_nc_u32_e32 v13, s13, v12
	v_add_nc_u32_e32 v12, s4, v12
	v_ashrrev_i32_e32 v14, 31, v13
	v_lshlrev_b64 v[13:14], 2, v[13:14]
	v_add_co_u32 v13, vcc_lo, s16, v13
	v_add_co_ci_u32_e64 v14, null, s17, v14, vcc_lo
	v_cmp_le_i32_e32 vcc_lo, s7, v12
	global_load_dword v13, v[13:14], off
	s_or_b32 s12, vcc_lo, s12
	s_waitcnt vmcnt(0)
	v_cvt_f32_f16_e32 v14, v13
	v_cvt_f32_f16_sdwa v13, v13 dst_sel:DWORD dst_unused:UNUSED_PAD src0_sel:WORD_1
	s_waitcnt lgkmcnt(0)
	v_sub_f32_e32 v14, v14, v11
	v_sub_f32_e32 v13, v13, v11
	v_fmac_f32_e32 v10, v14, v14
	v_fmac_f32_e32 v10, v13, v13
	s_andn2_b32 exec_lo, exec_lo, s12
	s_cbranch_execnz .LBB15_12
; %bb.13:
	s_or_b32 exec_lo, exec_lo, s12
.LBB15_14:
	s_or_b32 exec_lo, exec_lo, s5
	ds_bpermute_b32 v11, v1, v10
	s_waitcnt lgkmcnt(0)
	v_add_f32_e32 v10, v10, v11
	ds_bpermute_b32 v11, v2, v10
	s_waitcnt lgkmcnt(0)
	v_add_f32_e32 v10, v10, v11
	;; [unrolled: 3-line block ×4, first 2 shown]
	ds_bpermute_b32 v11, v6, v10
	s_and_saveexec_b32 s5, s1
	s_cbranch_execz .LBB15_16
; %bb.15:
	s_waitcnt lgkmcnt(0)
	v_add_f32_e32 v10, v10, v11
	ds_write_b32 v8, v10
.LBB15_16:
	s_or_b32 exec_lo, exec_lo, s5
	v_mov_b32_e32 v8, 0
	s_waitcnt lgkmcnt(0)
	s_barrier
	buffer_gl0_inv
	s_and_saveexec_b32 s1, s2
; %bb.17:
	ds_read_b32 v8, v9
; %bb.18:
	s_or_b32 exec_lo, exec_lo, s1
	s_waitcnt lgkmcnt(0)
	ds_bpermute_b32 v1, v1, v8
	s_waitcnt lgkmcnt(0)
	v_add_f32_e32 v1, v8, v1
	ds_bpermute_b32 v2, v2, v1
	s_waitcnt lgkmcnt(0)
	v_add_f32_e32 v1, v1, v2
	;; [unrolled: 3-line block ×4, first 2 shown]
	ds_bpermute_b32 v2, v6, v1
	s_and_saveexec_b32 s1, s3
	s_cbranch_execz .LBB15_20
; %bb.19:
	s_waitcnt lgkmcnt(0)
	v_add_f32_e32 v1, v1, v2
	v_div_scale_f32 v2, null, v7, v7, v1
	v_div_scale_f32 v6, vcc_lo, v1, v7, v1
	v_rcp_f32_e32 v4, v2
	v_fma_f32 v5, -v2, v4, 1.0
	v_fmac_f32_e32 v4, v5, v4
	v_mul_f32_e32 v5, v6, v4
	v_fma_f32 v8, -v2, v5, v6
	v_fmac_f32_e32 v5, v8, v4
	v_fma_f32 v2, -v2, v5, v6
	v_div_fmas_f32 v2, v2, v4, v5
	v_div_fixup_f32 v1, v2, v7, v1
	v_add_f32_e32 v1, s18, v1
	v_mul_f32_e32 v2, 0x4b800000, v1
	v_cmp_gt_f32_e32 vcc_lo, 0x800000, v1
	v_cndmask_b32_e32 v1, v1, v2, vcc_lo
	v_rsq_f32_e32 v1, v1
	v_mul_f32_e32 v2, 0x45800000, v1
	v_cndmask_b32_e32 v1, v1, v2, vcc_lo
	v_mov_b32_e32 v2, 0
	ds_write_b32 v2, v1 offset:128
.LBB15_20:
	s_or_b32 exec_lo, exec_lo, s1
	s_waitcnt lgkmcnt(0)
	s_barrier
	buffer_gl0_inv
	s_and_saveexec_b32 s1, s0
	s_cbranch_execz .LBB15_23
; %bb.21:
	v_mov_b32_e32 v4, 0
	s_lshr_b32 s1, s6, 1
	s_mov_b32 s2, 0
	s_lshl_b32 s3, s4, 2
	ds_read_b64 v[1:2], v4 offset:128
	s_inst_prefetch 0x1
	.p2align	6
.LBB15_22:                              ; =>This Inner Loop Header: Depth=1
	v_add_nc_u32_e32 v5, s1, v0
	v_add_nc_u32_e32 v0, s4, v0
	v_ashrrev_i32_e32 v6, 31, v5
	v_cmp_le_i32_e64 s0, s7, v0
	v_lshlrev_b64 v[5:6], 2, v[5:6]
	s_or_b32 s2, s0, s2
	v_add_co_u32 v5, vcc_lo, s16, v5
	v_add_co_ci_u32_e64 v6, null, s17, v6, vcc_lo
	v_add_co_u32 v7, vcc_lo, s8, v3
	v_add_co_ci_u32_e64 v8, null, s9, v4, vcc_lo
	global_load_dword v11, v[5:6], off
	v_add_co_u32 v9, vcc_lo, s10, v3
	v_add_co_ci_u32_e64 v10, null, s11, v4, vcc_lo
	global_load_dword v7, v[7:8], off
	global_load_dword v8, v[9:10], off
	v_add_co_u32 v3, vcc_lo, v3, s3
	v_add_co_ci_u32_e64 v4, null, 0, v4, vcc_lo
	s_waitcnt vmcnt(2)
	v_cvt_f32_f16_e32 v9, v11
	v_cvt_f32_f16_sdwa v10, v11 dst_sel:DWORD dst_unused:UNUSED_PAD src0_sel:WORD_1
	s_waitcnt lgkmcnt(0)
	v_sub_f32_e32 v9, v9, v2
	v_sub_f32_e32 v10, v10, v2
	v_mul_f32_e32 v9, v9, v1
	v_mul_f32_e32 v10, v1, v10
	s_waitcnt vmcnt(0)
	v_fma_mixlo_f16 v9, v9, v7, v8 op_sel_hi:[0,1,1]
	v_fma_mixhi_f16 v9, v10, v7, v8 op_sel:[0,1,1] op_sel_hi:[0,1,1]
	global_store_dword v[5:6], v9, off
	s_andn2_b32 exec_lo, exec_lo, s2
	s_cbranch_execnz .LBB15_22
.LBB15_23:
	s_inst_prefetch 0x2
	s_endpgm
	.section	.rodata,"a",@progbits
	.p2align	6, 0x0
	.amdhsa_kernel _Z35generalAddBiasResidualPostLayerNormI6__halfLi32EEvPT_PKS1_S4_S4_S4_fi
		.amdhsa_group_segment_fixed_size 136
		.amdhsa_private_segment_fixed_size 0
		.amdhsa_kernarg_size 304
		.amdhsa_user_sgpr_count 6
		.amdhsa_user_sgpr_private_segment_buffer 1
		.amdhsa_user_sgpr_dispatch_ptr 0
		.amdhsa_user_sgpr_queue_ptr 0
		.amdhsa_user_sgpr_kernarg_segment_ptr 1
		.amdhsa_user_sgpr_dispatch_id 0
		.amdhsa_user_sgpr_flat_scratch_init 0
		.amdhsa_user_sgpr_private_segment_size 0
		.amdhsa_wavefront_size32 1
		.amdhsa_uses_dynamic_stack 0
		.amdhsa_system_sgpr_private_segment_wavefront_offset 0
		.amdhsa_system_sgpr_workgroup_id_x 1
		.amdhsa_system_sgpr_workgroup_id_y 0
		.amdhsa_system_sgpr_workgroup_id_z 0
		.amdhsa_system_sgpr_workgroup_info 0
		.amdhsa_system_vgpr_workitem_id 0
		.amdhsa_next_free_vgpr 16
		.amdhsa_next_free_sgpr 21
		.amdhsa_reserve_vcc 1
		.amdhsa_reserve_flat_scratch 0
		.amdhsa_float_round_mode_32 0
		.amdhsa_float_round_mode_16_64 0
		.amdhsa_float_denorm_mode_32 3
		.amdhsa_float_denorm_mode_16_64 3
		.amdhsa_dx10_clamp 1
		.amdhsa_ieee_mode 1
		.amdhsa_fp16_overflow 0
		.amdhsa_workgroup_processor_mode 1
		.amdhsa_memory_ordered 1
		.amdhsa_forward_progress 1
		.amdhsa_shared_vgpr_count 0
		.amdhsa_exception_fp_ieee_invalid_op 0
		.amdhsa_exception_fp_denorm_src 0
		.amdhsa_exception_fp_ieee_div_zero 0
		.amdhsa_exception_fp_ieee_overflow 0
		.amdhsa_exception_fp_ieee_underflow 0
		.amdhsa_exception_fp_ieee_inexact 0
		.amdhsa_exception_int_div_zero 0
	.end_amdhsa_kernel
	.section	.text._Z35generalAddBiasResidualPostLayerNormI6__halfLi32EEvPT_PKS1_S4_S4_S4_fi,"axG",@progbits,_Z35generalAddBiasResidualPostLayerNormI6__halfLi32EEvPT_PKS1_S4_S4_S4_fi,comdat
.Lfunc_end15:
	.size	_Z35generalAddBiasResidualPostLayerNormI6__halfLi32EEvPT_PKS1_S4_S4_S4_fi, .Lfunc_end15-_Z35generalAddBiasResidualPostLayerNormI6__halfLi32EEvPT_PKS1_S4_S4_S4_fi
                                        ; -- End function
	.set _Z35generalAddBiasResidualPostLayerNormI6__halfLi32EEvPT_PKS1_S4_S4_S4_fi.num_vgpr, 16
	.set _Z35generalAddBiasResidualPostLayerNormI6__halfLi32EEvPT_PKS1_S4_S4_S4_fi.num_agpr, 0
	.set _Z35generalAddBiasResidualPostLayerNormI6__halfLi32EEvPT_PKS1_S4_S4_S4_fi.numbered_sgpr, 21
	.set _Z35generalAddBiasResidualPostLayerNormI6__halfLi32EEvPT_PKS1_S4_S4_S4_fi.num_named_barrier, 0
	.set _Z35generalAddBiasResidualPostLayerNormI6__halfLi32EEvPT_PKS1_S4_S4_S4_fi.private_seg_size, 0
	.set _Z35generalAddBiasResidualPostLayerNormI6__halfLi32EEvPT_PKS1_S4_S4_S4_fi.uses_vcc, 1
	.set _Z35generalAddBiasResidualPostLayerNormI6__halfLi32EEvPT_PKS1_S4_S4_S4_fi.uses_flat_scratch, 0
	.set _Z35generalAddBiasResidualPostLayerNormI6__halfLi32EEvPT_PKS1_S4_S4_S4_fi.has_dyn_sized_stack, 0
	.set _Z35generalAddBiasResidualPostLayerNormI6__halfLi32EEvPT_PKS1_S4_S4_S4_fi.has_recursion, 0
	.set _Z35generalAddBiasResidualPostLayerNormI6__halfLi32EEvPT_PKS1_S4_S4_S4_fi.has_indirect_call, 0
	.section	.AMDGPU.csdata,"",@progbits
; Kernel info:
; codeLenInByte = 1608
; TotalNumSgprs: 23
; NumVgprs: 16
; ScratchSize: 0
; MemoryBound: 0
; FloatMode: 240
; IeeeMode: 1
; LDSByteSize: 136 bytes/workgroup (compile time only)
; SGPRBlocks: 0
; VGPRBlocks: 1
; NumSGPRsForWavesPerEU: 23
; NumVGPRsForWavesPerEU: 16
; Occupancy: 16
; WaveLimiterHint : 0
; COMPUTE_PGM_RSRC2:SCRATCH_EN: 0
; COMPUTE_PGM_RSRC2:USER_SGPR: 6
; COMPUTE_PGM_RSRC2:TRAP_HANDLER: 0
; COMPUTE_PGM_RSRC2:TGID_X_EN: 1
; COMPUTE_PGM_RSRC2:TGID_Y_EN: 0
; COMPUTE_PGM_RSRC2:TGID_Z_EN: 0
; COMPUTE_PGM_RSRC2:TIDIG_COMP_CNT: 0
	.section	.text._Z30addBiasResidualPostLayerNormV2I14__hip_bfloat16Li64EEvPT_PKS1_S4_S4_S4_fi,"axG",@progbits,_Z30addBiasResidualPostLayerNormV2I14__hip_bfloat16Li64EEvPT_PKS1_S4_S4_S4_fi,comdat
	.protected	_Z30addBiasResidualPostLayerNormV2I14__hip_bfloat16Li64EEvPT_PKS1_S4_S4_S4_fi ; -- Begin function _Z30addBiasResidualPostLayerNormV2I14__hip_bfloat16Li64EEvPT_PKS1_S4_S4_S4_fi
	.globl	_Z30addBiasResidualPostLayerNormV2I14__hip_bfloat16Li64EEvPT_PKS1_S4_S4_S4_fi
	.p2align	8
	.type	_Z30addBiasResidualPostLayerNormV2I14__hip_bfloat16Li64EEvPT_PKS1_S4_S4_S4_fi,@function
_Z30addBiasResidualPostLayerNormV2I14__hip_bfloat16Li64EEvPT_PKS1_S4_S4_S4_fi: ; @_Z30addBiasResidualPostLayerNormV2I14__hip_bfloat16Li64EEvPT_PKS1_S4_S4_S4_fi
; %bb.0:
	s_clause 0x2
	s_load_dwordx2 s[12:13], s[4:5], 0x28
	s_load_dword s0, s[4:5], 0x3c
	s_load_dwordx2 s[14:15], s[4:5], 0x10
	s_add_u32 s2, s4, 48
	s_addc_u32 s3, s5, 0
	s_load_dwordx4 s[8:11], s[4:5], 0x0
	v_lshlrev_b32_e32 v5, 2, v0
	s_waitcnt lgkmcnt(0)
	s_mul_i32 s1, s13, s6
	s_and_b32 s0, s0, 0xffff
	s_lshr_b32 s6, s1, 31
	global_load_dword v16, v5, s[14:15]
	s_add_i32 s1, s1, s6
	s_ashr_i32 s1, s1, 1
	v_add_nc_u32_e32 v3, s1, v0
	v_add_co_u32 v1, s1, s14, v5
	v_add_co_ci_u32_e64 v2, null, s15, 0, s1
	v_ashrrev_i32_e32 v4, 31, v3
	v_add_nc_u32_e32 v6, s0, v3
	s_lshl_b32 s1, s0, 2
	v_add_co_u32 v10, vcc_lo, v1, s1
	v_lshlrev_b64 v[8:9], 2, v[3:4]
	v_ashrrev_i32_e32 v7, 31, v6
	v_add_co_ci_u32_e64 v11, null, 0, v2, vcc_lo
	v_lshlrev_b64 v[12:13], 2, v[6:7]
	v_add_co_u32 v1, vcc_lo, s8, v8
	v_add_co_ci_u32_e64 v2, null, s9, v9, vcc_lo
	v_add_co_u32 v7, vcc_lo, s10, v8
	v_add_co_ci_u32_e64 v8, null, s11, v9, vcc_lo
	v_add_nc_u32_e32 v6, s0, v6
	v_add_co_u32 v14, vcc_lo, v10, s1
	v_add_co_ci_u32_e64 v15, null, 0, v11, vcc_lo
	global_load_dword v4, v[7:8], off
	global_load_dword v17, v[1:2], off
	v_add_co_u32 v8, vcc_lo, s8, v12
	s_clause 0x1
	global_load_dword v18, v[10:11], off
	global_load_dword v19, v[14:15], off
	v_ashrrev_i32_e32 v7, 31, v6
	v_add_co_ci_u32_e64 v9, null, s9, v13, vcc_lo
	v_add_co_u32 v12, vcc_lo, s10, v12
	v_add_co_ci_u32_e64 v13, null, s11, v13, vcc_lo
	v_add_co_u32 v10, vcc_lo, v14, s1
	v_add_co_ci_u32_e64 v11, null, 0, v15, vcc_lo
	v_lshlrev_b64 v[14:15], 2, v[6:7]
	v_add_nc_u32_e32 v6, s0, v6
	global_load_dword v12, v[12:13], off
	global_load_dword v13, v[8:9], off
	;; [unrolled: 1-line block ×3, first 2 shown]
	v_ashrrev_i32_e32 v7, 31, v6
	v_add_co_u32 v8, vcc_lo, s10, v14
	v_add_co_ci_u32_e64 v9, null, s11, v15, vcc_lo
	v_add_co_u32 v10, vcc_lo, s8, v14
	v_add_co_ci_u32_e64 v11, null, s9, v15, vcc_lo
	v_lshlrev_b64 v[6:7], 2, v[6:7]
	global_load_dword v14, v[8:9], off
	global_load_dword v10, v[10:11], off
	v_add_co_u32 v8, vcc_lo, s10, v6
	v_add_co_ci_u32_e64 v9, null, s11, v7, vcc_lo
	v_add_co_u32 v6, vcc_lo, s8, v6
	v_add_co_ci_u32_e64 v7, null, s9, v7, vcc_lo
	global_load_dword v8, v[8:9], off
	global_load_dword v6, v[6:7], off
	s_waitcnt vmcnt(11)
	v_lshlrev_b32_e32 v7, 16, v16
	v_and_b32_e32 v9, 0xffff0000, v16
	s_waitcnt vmcnt(9)
	v_and_b32_e32 v21, 0xffff0000, v17
	v_lshlrev_b32_e32 v17, 16, v17
	s_waitcnt vmcnt(8)
	v_lshlrev_b32_e32 v11, 16, v18
	v_and_b32_e32 v15, 0xffff0000, v18
	v_and_b32_e32 v18, 0xffff0000, v4
	v_lshlrev_b32_e32 v4, 16, v4
	s_waitcnt vmcnt(7)
	v_lshlrev_b32_e32 v16, 16, v19
	v_and_b32_e32 v19, 0xffff0000, v19
	v_add_f32_e32 v18, v21, v18
	v_add_f32_e32 v4, v17, v4
	v_bfe_u32 v23, v18, 16, 1
	v_or_b32_e32 v24, 0x400000, v18
	s_waitcnt vmcnt(6)
	v_and_b32_e32 v17, 0xffff0000, v12
	s_waitcnt vmcnt(5)
	v_and_b32_e32 v21, 0xffff0000, v13
	v_lshlrev_b32_e32 v12, 16, v12
	v_lshlrev_b32_e32 v13, 16, v13
	v_bfe_u32 v25, v4, 16, 1
	v_add3_u32 v23, v23, v18, 0x7fff
	v_add_f32_e32 v17, v21, v17
	v_cmp_u_f32_e32 vcc_lo, v18, v18
	v_or_b32_e32 v26, 0x400000, v4
	v_add_f32_e32 v12, v13, v12
	v_add3_u32 v25, v25, v4, 0x7fff
	v_bfe_u32 v27, v17, 16, 1
	v_cndmask_b32_e32 v18, v23, v24, vcc_lo
	v_cmp_u_f32_e32 vcc_lo, v4, v4
	v_or_b32_e32 v28, 0x400000, v17
	s_waitcnt vmcnt(3)
	v_and_b32_e32 v13, 0xffff0000, v14
	s_waitcnt vmcnt(2)
	v_and_b32_e32 v21, 0xffff0000, v10
	v_lshlrev_b32_e32 v14, 16, v14
	v_lshlrev_b32_e32 v10, 16, v10
	v_bfe_u32 v29, v12, 16, 1
	v_cndmask_b32_e32 v4, v25, v26, vcc_lo
	v_add_f32_e32 v13, v21, v13
	v_add3_u32 v23, v27, v17, 0x7fff
	v_cmp_u_f32_e32 vcc_lo, v17, v17
	v_or_b32_e32 v30, 0x400000, v12
	v_add_f32_e32 v10, v10, v14
	v_add3_u32 v24, v29, v12, 0x7fff
	v_bfe_u32 v25, v13, 16, 1
	v_cndmask_b32_e32 v17, v23, v28, vcc_lo
	s_waitcnt vmcnt(1)
	v_and_b32_e32 v14, 0xffff0000, v8
	s_waitcnt vmcnt(0)
	v_and_b32_e32 v21, 0xffff0000, v6
	v_lshlrev_b32_e32 v8, 16, v8
	v_lshlrev_b32_e32 v6, 16, v6
	v_cmp_u_f32_e32 vcc_lo, v12, v12
	v_or_b32_e32 v26, 0x400000, v13
	v_bfe_u32 v27, v10, 16, 1
	v_add_f32_e32 v14, v21, v14
	v_add_f32_e32 v6, v6, v8
	v_and_b32_e32 v4, 0xffff0000, v4
	v_and_b32_e32 v8, 0xffff0000, v18
	v_cndmask_b32_e32 v12, v24, v30, vcc_lo
	v_add3_u32 v18, v25, v13, 0x7fff
	v_cmp_u_f32_e32 vcc_lo, v13, v13
	v_or_b32_e32 v29, 0x400000, v10
	v_add3_u32 v21, v27, v10, 0x7fff
	v_bfe_u32 v23, v14, 16, 1
	v_add_f32_e32 v4, v4, v7
	v_add_f32_e32 v7, v8, v9
	v_and_b32_e32 v8, 0xffff0000, v12
	v_cndmask_b32_e32 v12, v18, v26, vcc_lo
	v_cmp_u_f32_e32 vcc_lo, v10, v10
	v_or_b32_e32 v24, 0x400000, v14
	v_bfe_u32 v25, v6, 16, 1
	v_add3_u32 v13, v23, v14, 0x7fff
	v_or_b32_e32 v27, 0x400000, v6
	v_cndmask_b32_e32 v10, v21, v29, vcc_lo
	v_cmp_u_f32_e32 vcc_lo, v14, v14
	v_and_b32_e32 v9, 0xffff0000, v17
	v_add3_u32 v17, v25, v6, 0x7fff
	v_bfe_u32 v23, v7, 16, 1
	v_add_f32_e32 v8, v8, v11
	v_and_b32_e32 v11, 0xffff0000, v12
	v_cndmask_b32_e32 v12, v13, v24, vcc_lo
	v_cmp_u_f32_e32 vcc_lo, v6, v6
	v_bfe_u32 v18, v4, 16, 1
	v_or_b32_e32 v25, 0x400000, v7
	v_add3_u32 v13, v23, v7, 0x7fff
	v_or_b32_e32 v21, 0x400000, v4
	v_cndmask_b32_e32 v6, v17, v27, vcc_lo
	v_cmp_u_f32_e32 vcc_lo, v7, v7
	v_add3_u32 v14, v18, v4, 0x7fff
	v_add_f32_e32 v9, v9, v15
	v_bfe_u32 v15, v8, 16, 1
	v_and_b32_e32 v10, 0xffff0000, v10
	v_cndmask_b32_e32 v13, v13, v25, vcc_lo
	v_cmp_u_f32_e32 vcc_lo, v4, v4
	v_or_b32_e32 v4, 0x400000, v8
	v_bfe_u32 v7, v9, 16, 1
	v_add_f32_e32 v11, v11, v19
	v_and_b32_e32 v18, 0xffff0000, v13
	v_cndmask_b32_e32 v14, v14, v21, vcc_lo
	v_add3_u32 v15, v15, v8, 0x7fff
	v_cmp_u_f32_e32 vcc_lo, v8, v8
	v_or_b32_e32 v17, 0x400000, v9
	v_add_f32_e32 v18, 0, v18
	v_and_b32_e32 v21, 0xffff0000, v14
	v_add_f32_e32 v10, v10, v16
	v_add3_u32 v7, v7, v9, 0x7fff
	v_cndmask_b32_e32 v15, v15, v4, vcc_lo
	v_bfe_u32 v16, v18, 16, 1
	v_add_f32_e32 v19, 0, v21
	v_cmp_u_f32_e32 vcc_lo, v9, v9
	v_or_b32_e32 v4, 0x400000, v18
	v_lshlrev_b32_e32 v22, 16, v20
	v_add3_u32 v23, v16, v18, 0x7fff
	v_bfe_u32 v21, v19, 16, 1
	v_or_b32_e32 v8, 0x400000, v19
	v_cndmask_b32_e32 v16, v7, v17, vcc_lo
	v_cmp_u_f32_e32 vcc_lo, v19, v19
	v_and_b32_e32 v6, 0xffff0000, v6
	v_add3_u32 v21, v21, v19, 0x7fff
	v_and_b32_e32 v9, 0xffff0000, v15
	v_and_b32_e32 v17, 0xffff0000, v16
	v_bfe_u32 v19, v11, 16, 1
	v_add_f32_e32 v6, v6, v22
	v_cndmask_b32_e32 v7, v21, v8, vcc_lo
	v_cmp_u_f32_e32 vcc_lo, v18, v18
	v_bfe_u32 v8, v10, 16, 1
	v_or_b32_e32 v18, 0x400000, v10
	v_or_b32_e32 v21, 0x400000, v11
	v_and_b32_e32 v7, 0xffff0000, v7
	v_cndmask_b32_e32 v4, v23, v4, vcc_lo
	v_add3_u32 v8, v8, v10, 0x7fff
	v_cmp_u_f32_e32 vcc_lo, v10, v10
	v_and_b32_e32 v20, 0xffff0000, v20
	v_add_f32_e32 v7, v7, v9
	v_and_b32_e32 v4, 0xffff0000, v4
	v_add3_u32 v9, v19, v11, 0x7fff
	v_and_b32_e32 v12, 0xffff0000, v12
	v_bfe_u32 v19, v7, 16, 1
	v_add_f32_e32 v4, v4, v17
	v_cndmask_b32_e32 v17, v8, v18, vcc_lo
	v_cmp_u_f32_e32 vcc_lo, v11, v11
	v_or_b32_e32 v8, 0x400000, v7
	v_add3_u32 v19, v19, v7, 0x7fff
	v_bfe_u32 v22, v4, 16, 1
	v_or_b32_e32 v10, 0x400000, v4
	v_cndmask_b32_e32 v18, v9, v21, vcc_lo
	v_cmp_u_f32_e32 vcc_lo, v4, v4
	v_bfe_u32 v11, v6, 16, 1
	v_add3_u32 v22, v22, v4, 0x7fff
	v_and_b32_e32 v9, 0xffff0000, v18
	v_cndmask_b32_e32 v4, v22, v10, vcc_lo
	v_cmp_u_f32_e32 vcc_lo, v7, v7
	v_and_b32_e32 v10, 0xffff0000, v17
	v_and_b32_e32 v4, 0xffff0000, v4
	v_cndmask_b32_e32 v7, v19, v8, vcc_lo
	v_add_f32_e32 v8, v12, v20
	v_or_b32_e32 v12, 0x400000, v6
	v_cmp_u_f32_e32 vcc_lo, v6, v6
	v_add_f32_e32 v4, v4, v9
	v_and_b32_e32 v7, 0xffff0000, v7
	v_bfe_u32 v19, v8, 16, 1
	v_or_b32_e32 v9, 0x400000, v8
	v_bfe_u32 v20, v4, 16, 1
	v_add_f32_e32 v7, v7, v10
	v_add3_u32 v10, v11, v6, 0x7fff
	v_add3_u32 v11, v19, v8, 0x7fff
	v_or_b32_e32 v6, 0x400000, v4
	v_bfe_u32 v21, v7, 16, 1
	v_cndmask_b32_e32 v19, v10, v12, vcc_lo
	v_cmp_u_f32_e32 vcc_lo, v8, v8
	v_add3_u32 v12, v20, v4, 0x7fff
	v_or_b32_e32 v10, 0x400000, v7
	v_add3_u32 v21, v21, v7, 0x7fff
	v_and_b32_e32 v8, 0xffff0000, v19
	v_cndmask_b32_e32 v20, v11, v9, vcc_lo
	v_cmp_u_f32_e32 vcc_lo, v4, v4
	v_cndmask_b32_e32 v4, v12, v6, vcc_lo
	v_cmp_u_f32_e32 vcc_lo, v7, v7
	v_and_b32_e32 v7, 0xffff0000, v20
	v_and_b32_e32 v4, 0xffff0000, v4
	v_cndmask_b32_e32 v6, v21, v10, vcc_lo
	v_add_f32_e32 v4, v4, v7
	v_and_b32_e32 v6, 0xffff0000, v6
	v_bfe_u32 v7, v4, 16, 1
	v_add_f32_e32 v6, v6, v8
	v_or_b32_e32 v9, 0x400000, v4
	v_cmp_u_f32_e32 vcc_lo, v4, v4
	v_add3_u32 v7, v7, v4, 0x7fff
	v_bfe_u32 v8, v6, 16, 1
	v_or_b32_e32 v10, 0x400000, v6
	v_cndmask_b32_e32 v4, v7, v9, vcc_lo
	v_add3_u32 v8, v8, v6, 0x7fff
	v_cmp_u_f32_e32 vcc_lo, v6, v6
	v_and_b32_e32 v4, 0xffff0000, v4
	v_cndmask_b32_e32 v6, v8, v10, vcc_lo
	v_mbcnt_lo_u32_b32 v10, -1, 0
	v_and_b32_e32 v6, 0xffff0000, v6
	v_or_b32_e32 v7, 32, v10
	v_xor_b32_e32 v21, 1, v10
	v_add_f32_e32 v4, v6, v4
	v_cmp_gt_i32_e32 vcc_lo, 64, v7
	v_bfe_u32 v6, v4, 16, 1
	v_or_b32_e32 v8, 0x400000, v4
	v_cndmask_b32_e32 v7, v10, v7, vcc_lo
	v_cmp_u_f32_e32 vcc_lo, v4, v4
	v_add3_u32 v6, v6, v4, 0x7fff
	v_lshlrev_b32_e32 v4, 2, v7
	v_cndmask_b32_e32 v6, v6, v8, vcc_lo
	v_and_b32_e32 v7, 0xffff0000, v6
	v_xor_b32_e32 v6, 16, v10
	ds_bpermute_b32 v8, v4, v7
	v_cmp_gt_i32_e32 vcc_lo, 64, v6
	v_cndmask_b32_e32 v6, v10, v6, vcc_lo
	v_lshlrev_b32_e32 v6, 2, v6
	s_waitcnt lgkmcnt(0)
	v_add_f32_e32 v8, v7, v8
	v_xor_b32_e32 v7, 8, v10
	ds_bpermute_b32 v9, v6, v8
	v_cmp_gt_i32_e32 vcc_lo, 64, v7
	v_cndmask_b32_e32 v7, v10, v7, vcc_lo
	v_lshlrev_b32_e32 v7, 2, v7
	s_waitcnt lgkmcnt(0)
	v_add_f32_e32 v9, v8, v9
	;; [unrolled: 7-line block ×3, first 2 shown]
	v_xor_b32_e32 v9, 2, v10
	ds_bpermute_b32 v12, v8, v11
	v_cmp_gt_i32_e32 vcc_lo, 64, v9
	v_cndmask_b32_e32 v9, v10, v9, vcc_lo
	v_cmp_gt_i32_e32 vcc_lo, 64, v21
	v_lshlrev_b32_e32 v9, 2, v9
	v_cndmask_b32_e32 v10, v10, v21, vcc_lo
	v_mov_b32_e32 v21, 0
	v_lshlrev_b32_e32 v10, 2, v10
	s_waitcnt lgkmcnt(0)
	v_add_f32_e32 v11, v11, v12
	ds_bpermute_b32 v12, v9, v11
	s_waitcnt lgkmcnt(0)
	v_add_f32_e32 v22, v11, v12
	v_and_b32_e32 v12, 63, v0
	v_lshrrev_b32_e32 v11, 4, v0
	ds_bpermute_b32 v23, v10, v22
	v_cmp_eq_u32_e64 s0, 0, v12
	s_and_saveexec_b32 s1, s0
	s_cbranch_execz .LBB16_2
; %bb.1:
	s_waitcnt lgkmcnt(0)
	v_add_f32_e32 v22, v22, v23
	ds_write_b32 v11, v22
.LBB16_2:
	s_or_b32 exec_lo, exec_lo, s1
	s_waitcnt lgkmcnt(0)
	s_barrier
	buffer_gl0_inv
	s_load_dword s3, s[2:3], 0xc
	v_lshlrev_b32_e32 v12, 2, v12
	s_waitcnt lgkmcnt(0)
	s_bfe_u32 s1, s3, 0xa0006
	v_cmp_gt_u32_e64 s1, s1, v0
	s_and_saveexec_b32 s2, s1
; %bb.3:
	ds_read_b32 v21, v12
; %bb.4:
	s_or_b32 exec_lo, exec_lo, s2
	s_waitcnt lgkmcnt(0)
	ds_bpermute_b32 v22, v4, v21
	v_perm_b32 v16, v16, v15, 0x7060302
	v_perm_b32 v15, v18, v17, 0x7060302
	v_cmp_eq_u32_e64 s2, 0, v0
	v_cvt_f32_i32_e32 v0, s13
	s_waitcnt lgkmcnt(0)
	v_add_f32_e32 v21, v21, v22
	ds_bpermute_b32 v22, v6, v21
	s_waitcnt lgkmcnt(0)
	v_add_f32_e32 v21, v21, v22
	ds_bpermute_b32 v22, v7, v21
	;; [unrolled: 3-line block ×4, first 2 shown]
	s_waitcnt lgkmcnt(0)
	v_add_f32_e32 v22, v21, v22
	v_perm_b32 v21, v13, v14, 0x7060302
	v_perm_b32 v14, v20, v19, 0x7060302
	ds_bpermute_b32 v23, v10, v22
	s_and_saveexec_b32 s6, s2
	s_cbranch_execz .LBB16_6
; %bb.5:
	s_waitcnt lgkmcnt(0)
	v_add_f32_e32 v13, v22, v23
	v_div_scale_f32 v17, null, v0, v0, v13
	v_div_scale_f32 v20, vcc_lo, v13, v0, v13
	v_rcp_f32_e32 v18, v17
	v_fma_f32 v19, -v17, v18, 1.0
	v_fmac_f32_e32 v18, v19, v18
	v_mul_f32_e32 v19, v20, v18
	v_fma_f32 v22, -v17, v19, v20
	v_fmac_f32_e32 v19, v22, v18
	v_fma_f32 v17, -v17, v19, v20
	v_div_fmas_f32 v17, v17, v18, v19
	v_div_fixup_f32 v13, v17, v0, v13
	v_mov_b32_e32 v17, 0
	ds_write_b32 v17, v13 offset:68
.LBB16_6:
	s_or_b32 exec_lo, exec_lo, s6
	v_mov_b32_e32 v13, 0
	s_waitcnt lgkmcnt(0)
	s_barrier
	buffer_gl0_inv
	v_lshlrev_b32_e32 v22, 16, v14
	ds_read_b32 v17, v13 offset:68
	v_and_b32_e32 v14, 0xffff0000, v14
	v_lshlrev_b32_e32 v20, 16, v16
	v_and_b32_e32 v16, 0xffff0000, v16
	s_waitcnt lgkmcnt(0)
	v_bfe_u32 v18, v17, 16, 1
	v_or_b32_e32 v19, 0x400000, v17
	v_cmp_u_f32_e32 vcc_lo, v17, v17
	v_add_nc_u32_e32 v18, v18, v17
	v_add_nc_u32_e32 v18, 0x7fff, v18
	v_cndmask_b32_e32 v17, v18, v19, vcc_lo
	v_lshlrev_b32_e32 v18, 16, v21
	v_and_b32_e32 v19, 0xffff0000, v21
	v_lshlrev_b32_e32 v21, 16, v15
	v_and_b32_e32 v15, 0xffff0000, v15
	v_and_b32_e32 v17, 0xffff0000, v17
	v_sub_f32_e32 v18, v18, v17
	v_sub_f32_e32 v19, v19, v17
	;; [unrolled: 1-line block ×5, first 2 shown]
	v_bfe_u32 v14, v18, 16, 1
	v_sub_f32_e32 v24, v15, v17
	v_or_b32_e32 v15, 0x400000, v18
	v_bfe_u32 v16, v19, 16, 1
	v_cmp_u_f32_e32 vcc_lo, v18, v18
	v_add3_u32 v14, v14, v18, 0x7fff
	v_sub_f32_e32 v21, v21, v17
	v_sub_f32_e32 v22, v22, v17
	v_or_b32_e32 v17, 0x400000, v19
	v_bfe_u32 v26, v20, 16, 1
	v_add3_u32 v16, v16, v19, 0x7fff
	v_cndmask_b32_e32 v14, v14, v15, vcc_lo
	v_cmp_u_f32_e32 vcc_lo, v19, v19
	v_or_b32_e32 v27, 0x400000, v20
	v_bfe_u32 v28, v23, 16, 1
	v_add3_u32 v26, v26, v20, 0x7fff
	v_or_b32_e32 v29, 0x400000, v23
	v_cndmask_b32_e32 v15, v16, v17, vcc_lo
	v_cmp_u_f32_e32 vcc_lo, v20, v20
	v_bfe_u32 v30, v21, 16, 1
	v_add3_u32 v28, v28, v23, 0x7fff
	v_or_b32_e32 v31, 0x400000, v21
	v_bfe_u32 v32, v24, 16, 1
	v_cndmask_b32_e32 v16, v26, v27, vcc_lo
	v_cmp_u_f32_e32 vcc_lo, v23, v23
	v_add3_u32 v30, v30, v21, 0x7fff
	v_or_b32_e32 v33, 0x400000, v24
	v_bfe_u32 v34, v22, 16, 1
	v_add3_u32 v32, v32, v24, 0x7fff
	v_cndmask_b32_e32 v17, v28, v29, vcc_lo
	v_cmp_u_f32_e32 vcc_lo, v21, v21
	v_or_b32_e32 v35, 0x400000, v22
	v_bfe_u32 v36, v25, 16, 1
	v_add3_u32 v34, v34, v22, 0x7fff
	v_or_b32_e32 v37, 0x400000, v25
	v_cndmask_b32_e32 v18, v30, v31, vcc_lo
	v_cmp_u_f32_e32 vcc_lo, v24, v24
	v_add3_u32 v36, v36, v25, 0x7fff
	v_and_b32_e32 v21, 0xffff0000, v15
	v_and_b32_e32 v23, 0xffff0000, v14
	;; [unrolled: 1-line block ×3, first 2 shown]
	v_cndmask_b32_e32 v19, v32, v33, vcc_lo
	v_cmp_u_f32_e32 vcc_lo, v22, v22
	v_and_b32_e32 v22, 0xffff0000, v17
	v_mul_f32_e32 v27, v21, v21
	v_and_b32_e32 v26, 0xffff0000, v19
	v_cndmask_b32_e32 v20, v34, v35, vcc_lo
	v_cmp_u_f32_e32 vcc_lo, v25, v25
	v_mul_f32_e32 v22, v22, v22
	v_and_b32_e32 v25, 0xffff0000, v18
	v_mul_f32_e32 v26, v26, v26
	v_fmac_f32_e32 v27, v23, v23
	v_cndmask_b32_e32 v21, v36, v37, vcc_lo
	v_fmac_f32_e32 v22, v24, v24
	v_and_b32_e32 v24, 0xffff0000, v20
	v_fmac_f32_e32 v26, v25, v25
	v_and_b32_e32 v23, 0xffff0000, v21
	v_add_f32_e32 v22, v27, v22
	v_mul_f32_e32 v23, v23, v23
	v_add_f32_e32 v22, v22, v26
	v_fmac_f32_e32 v23, v24, v24
	v_add_f32_e32 v22, v22, v23
	ds_bpermute_b32 v23, v4, v22
	s_waitcnt lgkmcnt(0)
	v_add_f32_e32 v22, v22, v23
	ds_bpermute_b32 v23, v6, v22
	s_waitcnt lgkmcnt(0)
	;; [unrolled: 3-line block ×5, first 2 shown]
	v_add_f32_e32 v22, v22, v23
	ds_bpermute_b32 v23, v10, v22
	s_and_saveexec_b32 s6, s0
	s_cbranch_execz .LBB16_8
; %bb.7:
	s_waitcnt lgkmcnt(0)
	v_add_f32_e32 v22, v22, v23
	ds_write_b32 v11, v22
.LBB16_8:
	s_or_b32 exec_lo, exec_lo, s6
	s_load_dwordx4 s[4:7], s[4:5], 0x18
	s_waitcnt lgkmcnt(0)
	s_barrier
	buffer_gl0_inv
	s_and_saveexec_b32 s0, s1
; %bb.9:
	ds_read_b32 v13, v12
; %bb.10:
	s_or_b32 exec_lo, exec_lo, s0
	s_waitcnt lgkmcnt(0)
	ds_bpermute_b32 v4, v4, v13
	s_waitcnt lgkmcnt(0)
	v_add_f32_e32 v4, v13, v4
	ds_bpermute_b32 v6, v6, v4
	s_waitcnt lgkmcnt(0)
	v_add_f32_e32 v4, v4, v6
	ds_bpermute_b32 v6, v7, v4
	v_perm_b32 v7, v19, v18, 0x7060302
	s_waitcnt lgkmcnt(0)
	v_add_f32_e32 v4, v4, v6
	ds_bpermute_b32 v6, v8, v4
	v_perm_b32 v8, v17, v16, 0x7060302
	;; [unrolled: 4-line block ×3, first 2 shown]
	s_waitcnt lgkmcnt(0)
	v_add_f32_e32 v4, v4, v6
	v_perm_b32 v6, v21, v20, 0x7060302
	ds_bpermute_b32 v10, v10, v4
	s_and_saveexec_b32 s0, s2
	s_cbranch_execz .LBB16_12
; %bb.11:
	s_waitcnt lgkmcnt(0)
	v_add_f32_e32 v4, v4, v10
	v_div_scale_f32 v10, null, v0, v0, v4
	v_div_scale_f32 v13, vcc_lo, v4, v0, v4
	v_rcp_f32_e32 v11, v10
	v_fma_f32 v12, -v10, v11, 1.0
	v_fmac_f32_e32 v11, v12, v11
	v_mul_f32_e32 v12, v13, v11
	v_fma_f32 v14, -v10, v12, v13
	v_fmac_f32_e32 v12, v14, v11
	v_fma_f32 v10, -v10, v12, v13
	v_div_fmas_f32 v10, v10, v11, v12
	v_div_fixup_f32 v0, v10, v0, v4
	v_add_f32_e32 v0, s12, v0
	v_mul_f32_e32 v4, 0x4b800000, v0
	v_cmp_gt_f32_e32 vcc_lo, 0x800000, v0
	v_cndmask_b32_e32 v0, v0, v4, vcc_lo
	v_rsq_f32_e32 v0, v0
	v_mul_f32_e32 v4, 0x45800000, v0
	v_cndmask_b32_e32 v0, v0, v4, vcc_lo
	v_mov_b32_e32 v4, 0
	ds_write_b32 v4, v0 offset:64
.LBB16_12:
	s_or_b32 exec_lo, exec_lo, s0
	v_add_co_u32 v12, s1, s4, v5
	v_add_co_ci_u32_e64 v13, null, s5, 0, s1
	s_waitcnt lgkmcnt(0)
	v_add_co_u32 v10, s1, s6, v5
	s_and_b32 s0, 0xffff, s3
	v_add_co_ci_u32_e64 v11, null, s7, 0, s1
	s_lshl_b32 s1, s0, 2
	s_barrier
	buffer_gl0_inv
	s_clause 0x1
	global_load_dword v0, v5, s[6:7]
	global_load_dword v4, v5, s[4:5]
	v_add_co_u32 v10, vcc_lo, v10, s1
	v_add_co_ci_u32_e64 v11, null, 0, v11, vcc_lo
	v_add_co_u32 v12, vcc_lo, v12, s1
	v_add_co_ci_u32_e64 v13, null, 0, v13, vcc_lo
	global_load_dword v14, v[10:11], off
	global_load_dword v15, v[12:13], off
	v_add_co_u32 v10, vcc_lo, v10, s1
	v_add_co_ci_u32_e64 v11, null, 0, v11, vcc_lo
	v_add_co_u32 v12, vcc_lo, v12, s1
	v_add_co_ci_u32_e64 v13, null, 0, v13, vcc_lo
	global_load_dword v16, v[10:11], off
	global_load_dword v17, v[12:13], off
	;; [unrolled: 6-line block ×3, first 2 shown]
	v_mov_b32_e32 v5, 0
	v_and_b32_e32 v18, 0xffff0000, v9
	v_lshlrev_b32_e32 v19, 16, v9
	v_add_nc_u32_e32 v9, s0, v3
	v_and_b32_e32 v20, 0xffff0000, v8
	ds_read_b32 v13, v5 offset:64
	v_lshlrev_b32_e32 v3, 16, v8
	v_and_b32_e32 v21, 0xffff0000, v7
	v_ashrrev_i32_e32 v10, 31, v9
	v_lshlrev_b32_e32 v22, 16, v7
	v_and_b32_e32 v23, 0xffff0000, v6
	v_add_nc_u32_e32 v7, s0, v9
	v_lshlrev_b64 v[9:10], 2, v[9:10]
	v_ashrrev_i32_e32 v8, 31, v7
	s_waitcnt lgkmcnt(0)
	v_bfe_u32 v5, v13, 16, 1
	v_or_b32_e32 v24, 0x400000, v13
	v_cmp_u_f32_e32 vcc_lo, v13, v13
	v_add_nc_u32_e32 v5, v5, v13
	v_add_nc_u32_e32 v25, 0x7fff, v5
	v_add_nc_u32_e32 v5, s0, v7
	v_lshlrev_b64 v[7:8], 2, v[7:8]
	v_cndmask_b32_e32 v13, v25, v24, vcc_lo
	v_lshlrev_b32_e32 v24, 16, v6
	v_add_co_u32 v9, vcc_lo, s8, v9
	v_add_co_ci_u32_e64 v10, null, s9, v10, vcc_lo
	v_and_b32_e32 v13, 0xffff0000, v13
	v_ashrrev_i32_e32 v6, 31, v5
	v_mul_f32_e32 v18, v13, v18
	v_mul_f32_e32 v19, v13, v19
	;; [unrolled: 1-line block ×8, first 2 shown]
	v_bfe_u32 v24, v18, 16, 1
	v_or_b32_e32 v25, 0x400000, v18
	v_bfe_u32 v26, v19, 16, 1
	v_cmp_u_f32_e32 vcc_lo, v18, v18
	v_or_b32_e32 v27, 0x400000, v19
	v_add3_u32 v24, v24, v18, 0x7fff
	v_bfe_u32 v28, v20, 16, 1
	v_add3_u32 v26, v26, v19, 0x7fff
	v_or_b32_e32 v29, 0x400000, v20
	v_bfe_u32 v30, v3, 16, 1
	v_cndmask_b32_e32 v18, v24, v25, vcc_lo
	v_cmp_u_f32_e32 vcc_lo, v19, v19
	v_add3_u32 v28, v28, v20, 0x7fff
	v_or_b32_e32 v31, 0x400000, v3
	v_bfe_u32 v32, v21, 16, 1
	v_add3_u32 v30, v30, v3, 0x7fff
	v_cndmask_b32_e32 v19, v26, v27, vcc_lo
	v_cmp_u_f32_e32 vcc_lo, v20, v20
	v_or_b32_e32 v33, 0x400000, v21
	v_bfe_u32 v34, v22, 16, 1
	v_add3_u32 v32, v32, v21, 0x7fff
	v_or_b32_e32 v35, 0x400000, v22
	v_cndmask_b32_e32 v20, v28, v29, vcc_lo
	v_cmp_u_f32_e32 vcc_lo, v3, v3
	v_bfe_u32 v36, v23, 16, 1
	v_add3_u32 v34, v34, v22, 0x7fff
	v_or_b32_e32 v37, 0x400000, v23
	v_bfe_u32 v38, v13, 16, 1
	v_cndmask_b32_e32 v3, v30, v31, vcc_lo
	v_cmp_u_f32_e32 vcc_lo, v21, v21
	v_add3_u32 v36, v36, v23, 0x7fff
	v_and_b32_e32 v19, 0xffff0000, v19
	v_or_b32_e32 v39, 0x400000, v13
	v_add3_u32 v38, v38, v13, 0x7fff
	v_cndmask_b32_e32 v21, v32, v33, vcc_lo
	v_cmp_u_f32_e32 vcc_lo, v22, v22
	v_and_b32_e32 v18, 0xffff0000, v18
	v_and_b32_e32 v3, 0xffff0000, v3
	;; [unrolled: 1-line block ×3, first 2 shown]
	v_lshlrev_b64 v[5:6], 2, v[5:6]
	v_cndmask_b32_e32 v22, v34, v35, vcc_lo
	v_cmp_u_f32_e32 vcc_lo, v23, v23
	v_and_b32_e32 v22, 0xffff0000, v22
	v_cndmask_b32_e32 v23, v36, v37, vcc_lo
	v_cmp_u_f32_e32 vcc_lo, v13, v13
	v_cndmask_b32_e32 v13, v38, v39, vcc_lo
	s_waitcnt vmcnt(7)
	v_lshlrev_b32_e32 v24, 16, v0
	s_waitcnt vmcnt(6)
	v_lshlrev_b32_e32 v25, 16, v4
	v_and_b32_e32 v0, 0xffff0000, v0
	v_and_b32_e32 v4, 0xffff0000, v4
	v_fmac_f32_e32 v24, v19, v25
	v_and_b32_e32 v19, 0xffff0000, v21
	v_fmac_f32_e32 v0, v18, v4
	v_and_b32_e32 v4, 0xffff0000, v13
	v_and_b32_e32 v13, 0xffff0000, v23
	v_bfe_u32 v18, v24, 16, 1
	s_waitcnt vmcnt(5)
	v_lshlrev_b32_e32 v25, 16, v14
	s_waitcnt vmcnt(4)
	v_lshlrev_b32_e32 v26, 16, v15
	v_or_b32_e32 v21, 0x400000, v24
	v_bfe_u32 v23, v0, 16, 1
	v_and_b32_e32 v14, 0xffff0000, v14
	v_and_b32_e32 v15, 0xffff0000, v15
	v_add3_u32 v18, v18, v24, 0x7fff
	v_fmac_f32_e32 v25, v3, v26
	v_cmp_u_f32_e32 vcc_lo, v24, v24
	v_or_b32_e32 v27, 0x400000, v0
	v_add3_u32 v23, v23, v0, 0x7fff
	v_fmac_f32_e32 v14, v20, v15
	s_waitcnt vmcnt(3)
	v_lshlrev_b32_e32 v3, 16, v16
	s_waitcnt vmcnt(2)
	v_lshlrev_b32_e32 v15, 16, v17
	v_and_b32_e32 v16, 0xffff0000, v16
	v_and_b32_e32 v17, 0xffff0000, v17
	v_cndmask_b32_e32 v18, v18, v21, vcc_lo
	v_cmp_u_f32_e32 vcc_lo, v0, v0
	v_bfe_u32 v20, v25, 16, 1
	v_or_b32_e32 v21, 0x400000, v25
	v_fmac_f32_e32 v3, v22, v15
	v_fmac_f32_e32 v16, v19, v17
	v_cndmask_b32_e32 v0, v23, v27, vcc_lo
	v_bfe_u32 v23, v14, 16, 1
	s_waitcnt vmcnt(1)
	v_lshlrev_b32_e32 v15, 16, v11
	s_waitcnt vmcnt(0)
	v_lshlrev_b32_e32 v17, 16, v12
	v_and_b32_e32 v11, 0xffff0000, v11
	v_and_b32_e32 v12, 0xffff0000, v12
	v_add3_u32 v19, v20, v25, 0x7fff
	v_cmp_u_f32_e32 vcc_lo, v25, v25
	v_or_b32_e32 v24, 0x400000, v14
	v_add3_u32 v20, v23, v14, 0x7fff
	v_bfe_u32 v22, v3, 16, 1
	v_fmac_f32_e32 v11, v13, v12
	v_cndmask_b32_e32 v12, v19, v21, vcc_lo
	v_cmp_u_f32_e32 vcc_lo, v14, v14
	v_or_b32_e32 v23, 0x400000, v3
	v_bfe_u32 v26, v16, 16, 1
	v_fmac_f32_e32 v15, v4, v17
	v_add3_u32 v4, v22, v3, 0x7fff
	v_cndmask_b32_e32 v13, v20, v24, vcc_lo
	v_cmp_u_f32_e32 vcc_lo, v3, v3
	v_or_b32_e32 v27, 0x400000, v16
	v_add3_u32 v14, v26, v16, 0x7fff
	v_bfe_u32 v17, v15, 16, 1
	v_or_b32_e32 v19, 0x400000, v15
	v_cndmask_b32_e32 v22, v4, v23, vcc_lo
	v_cmp_u_f32_e32 vcc_lo, v16, v16
	v_bfe_u32 v20, v11, 16, 1
	v_add3_u32 v3, v17, v15, 0x7fff
	v_or_b32_e32 v21, 0x400000, v11
	v_perm_b32 v0, v0, v18, 0x7060302
	v_cndmask_b32_e32 v14, v14, v27, vcc_lo
	v_cmp_u_f32_e32 vcc_lo, v15, v15
	v_add3_u32 v4, v20, v11, 0x7fff
	v_cndmask_b32_e32 v15, v3, v19, vcc_lo
	v_cmp_u_f32_e32 vcc_lo, v11, v11
	v_cndmask_b32_e32 v11, v4, v21, vcc_lo
	v_add_co_u32 v3, vcc_lo, s8, v7
	v_add_co_ci_u32_e64 v4, null, s9, v8, vcc_lo
	v_perm_b32 v7, v13, v12, 0x7060302
	v_add_co_u32 v5, vcc_lo, s8, v5
	v_perm_b32 v8, v14, v22, 0x7060302
	v_perm_b32 v11, v11, v15, 0x7060302
	v_add_co_ci_u32_e64 v6, null, s9, v6, vcc_lo
	global_store_dword v[1:2], v0, off
	global_store_dword v[9:10], v7, off
	;; [unrolled: 1-line block ×4, first 2 shown]
	s_endpgm
	.section	.rodata,"a",@progbits
	.p2align	6, 0x0
	.amdhsa_kernel _Z30addBiasResidualPostLayerNormV2I14__hip_bfloat16Li64EEvPT_PKS1_S4_S4_S4_fi
		.amdhsa_group_segment_fixed_size 72
		.amdhsa_private_segment_fixed_size 0
		.amdhsa_kernarg_size 304
		.amdhsa_user_sgpr_count 6
		.amdhsa_user_sgpr_private_segment_buffer 1
		.amdhsa_user_sgpr_dispatch_ptr 0
		.amdhsa_user_sgpr_queue_ptr 0
		.amdhsa_user_sgpr_kernarg_segment_ptr 1
		.amdhsa_user_sgpr_dispatch_id 0
		.amdhsa_user_sgpr_flat_scratch_init 0
		.amdhsa_user_sgpr_private_segment_size 0
		.amdhsa_wavefront_size32 1
		.amdhsa_uses_dynamic_stack 0
		.amdhsa_system_sgpr_private_segment_wavefront_offset 0
		.amdhsa_system_sgpr_workgroup_id_x 1
		.amdhsa_system_sgpr_workgroup_id_y 0
		.amdhsa_system_sgpr_workgroup_id_z 0
		.amdhsa_system_sgpr_workgroup_info 0
		.amdhsa_system_vgpr_workitem_id 0
		.amdhsa_next_free_vgpr 40
		.amdhsa_next_free_sgpr 16
		.amdhsa_reserve_vcc 1
		.amdhsa_reserve_flat_scratch 0
		.amdhsa_float_round_mode_32 0
		.amdhsa_float_round_mode_16_64 0
		.amdhsa_float_denorm_mode_32 3
		.amdhsa_float_denorm_mode_16_64 3
		.amdhsa_dx10_clamp 1
		.amdhsa_ieee_mode 1
		.amdhsa_fp16_overflow 0
		.amdhsa_workgroup_processor_mode 1
		.amdhsa_memory_ordered 1
		.amdhsa_forward_progress 1
		.amdhsa_shared_vgpr_count 0
		.amdhsa_exception_fp_ieee_invalid_op 0
		.amdhsa_exception_fp_denorm_src 0
		.amdhsa_exception_fp_ieee_div_zero 0
		.amdhsa_exception_fp_ieee_overflow 0
		.amdhsa_exception_fp_ieee_underflow 0
		.amdhsa_exception_fp_ieee_inexact 0
		.amdhsa_exception_int_div_zero 0
	.end_amdhsa_kernel
	.section	.text._Z30addBiasResidualPostLayerNormV2I14__hip_bfloat16Li64EEvPT_PKS1_S4_S4_S4_fi,"axG",@progbits,_Z30addBiasResidualPostLayerNormV2I14__hip_bfloat16Li64EEvPT_PKS1_S4_S4_S4_fi,comdat
.Lfunc_end16:
	.size	_Z30addBiasResidualPostLayerNormV2I14__hip_bfloat16Li64EEvPT_PKS1_S4_S4_S4_fi, .Lfunc_end16-_Z30addBiasResidualPostLayerNormV2I14__hip_bfloat16Li64EEvPT_PKS1_S4_S4_S4_fi
                                        ; -- End function
	.set _Z30addBiasResidualPostLayerNormV2I14__hip_bfloat16Li64EEvPT_PKS1_S4_S4_S4_fi.num_vgpr, 40
	.set _Z30addBiasResidualPostLayerNormV2I14__hip_bfloat16Li64EEvPT_PKS1_S4_S4_S4_fi.num_agpr, 0
	.set _Z30addBiasResidualPostLayerNormV2I14__hip_bfloat16Li64EEvPT_PKS1_S4_S4_S4_fi.numbered_sgpr, 16
	.set _Z30addBiasResidualPostLayerNormV2I14__hip_bfloat16Li64EEvPT_PKS1_S4_S4_S4_fi.num_named_barrier, 0
	.set _Z30addBiasResidualPostLayerNormV2I14__hip_bfloat16Li64EEvPT_PKS1_S4_S4_S4_fi.private_seg_size, 0
	.set _Z30addBiasResidualPostLayerNormV2I14__hip_bfloat16Li64EEvPT_PKS1_S4_S4_S4_fi.uses_vcc, 1
	.set _Z30addBiasResidualPostLayerNormV2I14__hip_bfloat16Li64EEvPT_PKS1_S4_S4_S4_fi.uses_flat_scratch, 0
	.set _Z30addBiasResidualPostLayerNormV2I14__hip_bfloat16Li64EEvPT_PKS1_S4_S4_S4_fi.has_dyn_sized_stack, 0
	.set _Z30addBiasResidualPostLayerNormV2I14__hip_bfloat16Li64EEvPT_PKS1_S4_S4_S4_fi.has_recursion, 0
	.set _Z30addBiasResidualPostLayerNormV2I14__hip_bfloat16Li64EEvPT_PKS1_S4_S4_S4_fi.has_indirect_call, 0
	.section	.AMDGPU.csdata,"",@progbits
; Kernel info:
; codeLenInByte = 4716
; TotalNumSgprs: 18
; NumVgprs: 40
; ScratchSize: 0
; MemoryBound: 0
; FloatMode: 240
; IeeeMode: 1
; LDSByteSize: 72 bytes/workgroup (compile time only)
; SGPRBlocks: 0
; VGPRBlocks: 4
; NumSGPRsForWavesPerEU: 18
; NumVGPRsForWavesPerEU: 40
; Occupancy: 16
; WaveLimiterHint : 0
; COMPUTE_PGM_RSRC2:SCRATCH_EN: 0
; COMPUTE_PGM_RSRC2:USER_SGPR: 6
; COMPUTE_PGM_RSRC2:TRAP_HANDLER: 0
; COMPUTE_PGM_RSRC2:TGID_X_EN: 1
; COMPUTE_PGM_RSRC2:TGID_Y_EN: 0
; COMPUTE_PGM_RSRC2:TGID_Z_EN: 0
; COMPUTE_PGM_RSRC2:TIDIG_COMP_CNT: 0
	.section	.text._Z30addBiasResidualPostLayerNormV2I14__hip_bfloat16Li32EEvPT_PKS1_S4_S4_S4_fi,"axG",@progbits,_Z30addBiasResidualPostLayerNormV2I14__hip_bfloat16Li32EEvPT_PKS1_S4_S4_S4_fi,comdat
	.protected	_Z30addBiasResidualPostLayerNormV2I14__hip_bfloat16Li32EEvPT_PKS1_S4_S4_S4_fi ; -- Begin function _Z30addBiasResidualPostLayerNormV2I14__hip_bfloat16Li32EEvPT_PKS1_S4_S4_S4_fi
	.globl	_Z30addBiasResidualPostLayerNormV2I14__hip_bfloat16Li32EEvPT_PKS1_S4_S4_S4_fi
	.p2align	8
	.type	_Z30addBiasResidualPostLayerNormV2I14__hip_bfloat16Li32EEvPT_PKS1_S4_S4_S4_fi,@function
_Z30addBiasResidualPostLayerNormV2I14__hip_bfloat16Li32EEvPT_PKS1_S4_S4_S4_fi: ; @_Z30addBiasResidualPostLayerNormV2I14__hip_bfloat16Li32EEvPT_PKS1_S4_S4_S4_fi
; %bb.0:
	s_clause 0x2
	s_load_dwordx2 s[8:9], s[4:5], 0x28
	s_load_dword s7, s[4:5], 0x3c
	s_load_dwordx2 s[10:11], s[4:5], 0x10
	v_lshlrev_b32_e32 v9, 2, v0
	s_waitcnt lgkmcnt(0)
	s_mul_i32 s0, s9, s6
	s_and_b32 s6, s7, 0xffff
	s_lshr_b32 s1, s0, 31
	v_add_co_u32 v7, s7, s10, v9
	s_add_i32 s0, s0, s1
	v_add_co_ci_u32_e64 v8, null, s11, 0, s7
	s_ashr_i32 s0, s0, 1
	global_load_dword v14, v9, s[10:11]
	v_add_nc_u32_e32 v1, s0, v0
	s_load_dwordx4 s[0:3], s[4:5], 0x0
	s_lshl_b32 s10, s6, 2
	v_add_co_u32 v7, vcc_lo, v7, s10
	v_ashrrev_i32_e32 v2, 31, v1
	v_add_nc_u32_e32 v3, s6, v1
	v_add_co_ci_u32_e64 v8, null, 0, v8, vcc_lo
	v_lshlrev_b64 v[5:6], 2, v[1:2]
	v_ashrrev_i32_e32 v4, 31, v3
	v_lshlrev_b64 v[10:11], 2, v[3:4]
	s_waitcnt lgkmcnt(0)
	v_add_co_u32 v1, vcc_lo, s0, v5
	v_add_co_ci_u32_e64 v2, null, s1, v6, vcc_lo
	v_add_co_u32 v4, vcc_lo, s2, v5
	v_add_co_ci_u32_e64 v5, null, s3, v6, vcc_lo
	;; [unrolled: 2-line block ×3, first 2 shown]
	v_add_nc_u32_e32 v6, s6, v3
	v_add_co_u32 v3, vcc_lo, s0, v10
	global_load_dword v15, v[4:5], off
	global_load_dword v16, v[1:2], off
	v_add_co_ci_u32_e64 v4, null, s1, v11, vcc_lo
	v_add_co_u32 v10, vcc_lo, s2, v10
	v_add_co_ci_u32_e64 v11, null, s3, v11, vcc_lo
	s_clause 0x1
	global_load_dword v17, v[7:8], off
	global_load_dword v18, v[12:13], off
	v_ashrrev_i32_e32 v7, 31, v6
	v_add_co_u32 v12, vcc_lo, v12, s10
	v_add_co_ci_u32_e64 v13, null, 0, v13, vcc_lo
	v_lshlrev_b64 v[7:8], 2, v[6:7]
	global_load_dword v19, v[10:11], off
	global_load_dword v20, v[3:4], off
	v_add_nc_u32_e32 v10, s6, v6
	global_load_dword v21, v[12:13], off
	v_add_co_u32 v12, vcc_lo, s2, v7
	v_ashrrev_i32_e32 v11, 31, v10
	v_add_co_ci_u32_e64 v13, null, s3, v8, vcc_lo
	v_add_co_u32 v5, vcc_lo, s0, v7
	v_add_co_ci_u32_e64 v6, null, s1, v8, vcc_lo
	v_lshlrev_b64 v[7:8], 2, v[10:11]
	global_load_dword v12, v[12:13], off
	global_load_dword v13, v[5:6], off
	v_add_co_u32 v10, vcc_lo, s2, v7
	v_add_co_ci_u32_e64 v11, null, s3, v8, vcc_lo
	v_add_co_u32 v7, vcc_lo, s0, v7
	v_add_co_ci_u32_e64 v8, null, s1, v8, vcc_lo
	global_load_dword v10, v[10:11], off
	global_load_dword v11, v[7:8], off
	s_waitcnt vmcnt(11)
	v_lshlrev_b32_e32 v22, 16, v14
	v_and_b32_e32 v14, 0xffff0000, v14
	s_waitcnt vmcnt(10)
	v_and_b32_e32 v25, 0xffff0000, v15
	s_waitcnt vmcnt(9)
	v_and_b32_e32 v26, 0xffff0000, v16
	v_lshlrev_b32_e32 v15, 16, v15
	v_lshlrev_b32_e32 v16, 16, v16
	v_add_f32_e32 v15, v16, v15
	s_waitcnt vmcnt(7)
	v_lshlrev_b32_e32 v24, 16, v18
	v_and_b32_e32 v27, 0xffff0000, v18
	v_add_f32_e32 v18, v26, v25
	v_lshlrev_b32_e32 v23, 16, v17
	v_bfe_u32 v30, v15, 16, 1
	v_or_b32_e32 v31, 0x400000, v15
	s_waitcnt vmcnt(6)
	v_and_b32_e32 v16, 0xffff0000, v19
	v_bfe_u32 v25, v18, 16, 1
	v_lshlrev_b32_e32 v19, 16, v19
	s_waitcnt vmcnt(4)
	v_lshlrev_b32_e32 v28, 16, v21
	v_and_b32_e32 v29, 0xffff0000, v21
	v_and_b32_e32 v21, 0xffff0000, v20
	v_lshlrev_b32_e32 v20, 16, v20
	v_or_b32_e32 v26, 0x400000, v18
	v_add3_u32 v25, v25, v18, 0x7fff
	v_cmp_u_f32_e32 vcc_lo, v18, v18
	v_add_f32_e32 v16, v21, v16
	v_add_f32_e32 v19, v20, v19
	v_add3_u32 v30, v30, v15, 0x7fff
	v_and_b32_e32 v17, 0xffff0000, v17
	v_cndmask_b32_e32 v18, v25, v26, vcc_lo
	v_bfe_u32 v32, v16, 16, 1
	s_waitcnt vmcnt(3)
	v_and_b32_e32 v20, 0xffff0000, v12
	s_waitcnt vmcnt(2)
	v_and_b32_e32 v21, 0xffff0000, v13
	v_cmp_u_f32_e32 vcc_lo, v15, v15
	v_lshlrev_b32_e32 v12, 16, v12
	v_lshlrev_b32_e32 v13, 16, v13
	v_or_b32_e32 v33, 0x400000, v16
	v_bfe_u32 v34, v19, 16, 1
	v_add_f32_e32 v20, v21, v20
	v_cndmask_b32_e32 v15, v30, v31, vcc_lo
	v_add3_u32 v25, v32, v16, 0x7fff
	v_cmp_u_f32_e32 vcc_lo, v16, v16
	v_or_b32_e32 v35, 0x400000, v19
	v_add_f32_e32 v12, v13, v12
	v_add3_u32 v26, v34, v19, 0x7fff
	s_waitcnt vmcnt(1)
	v_and_b32_e32 v13, 0xffff0000, v10
	s_waitcnt vmcnt(0)
	v_and_b32_e32 v21, 0xffff0000, v11
	v_lshlrev_b32_e32 v10, 16, v10
	v_lshlrev_b32_e32 v11, 16, v11
	v_bfe_u32 v30, v20, 16, 1
	v_cndmask_b32_e32 v16, v25, v33, vcc_lo
	v_cmp_u_f32_e32 vcc_lo, v19, v19
	v_or_b32_e32 v31, 0x400000, v20
	v_bfe_u32 v32, v12, 16, 1
	v_add_f32_e32 v13, v21, v13
	v_add_f32_e32 v10, v11, v10
	v_and_b32_e32 v11, 0xffff0000, v15
	v_and_b32_e32 v15, 0xffff0000, v18
	v_cndmask_b32_e32 v18, v26, v35, vcc_lo
	v_add3_u32 v19, v30, v20, 0x7fff
	v_cmp_u_f32_e32 vcc_lo, v20, v20
	v_or_b32_e32 v34, 0x400000, v12
	v_add3_u32 v21, v32, v12, 0x7fff
	v_bfe_u32 v25, v13, 16, 1
	v_add_f32_e32 v14, v15, v14
	v_and_b32_e32 v15, 0xffff0000, v18
	v_cndmask_b32_e32 v18, v19, v31, vcc_lo
	v_cmp_u_f32_e32 vcc_lo, v12, v12
	v_or_b32_e32 v26, 0x400000, v13
	v_bfe_u32 v30, v10, 16, 1
	v_add3_u32 v19, v25, v13, 0x7fff
	v_or_b32_e32 v32, 0x400000, v10
	v_cndmask_b32_e32 v12, v21, v34, vcc_lo
	v_cmp_u_f32_e32 vcc_lo, v13, v13
	v_add_f32_e32 v11, v11, v22
	v_and_b32_e32 v16, 0xffff0000, v16
	v_add3_u32 v20, v30, v10, 0x7fff
	v_bfe_u32 v25, v14, 16, 1
	v_cndmask_b32_e32 v13, v19, v26, vcc_lo
	v_cmp_u_f32_e32 vcc_lo, v10, v10
	v_bfe_u32 v21, v11, 16, 1
	v_or_b32_e32 v30, 0x400000, v14
	v_add_f32_e32 v16, v16, v17
	v_add3_u32 v17, v25, v14, 0x7fff
	v_cndmask_b32_e32 v10, v20, v32, vcc_lo
	v_cmp_u_f32_e32 vcc_lo, v14, v14
	v_or_b32_e32 v22, 0x400000, v11
	v_add_f32_e32 v15, v15, v23
	v_and_b32_e32 v23, 0xffff0000, v18
	v_add3_u32 v18, v21, v11, 0x7fff
	v_cndmask_b32_e32 v17, v17, v30, vcc_lo
	v_cmp_u_f32_e32 vcc_lo, v11, v11
	v_bfe_u32 v19, v15, 16, 1
	v_or_b32_e32 v11, 0x400000, v15
	v_bfe_u32 v14, v16, 16, 1
	v_and_b32_e32 v21, 0xffff0000, v17
	v_cndmask_b32_e32 v18, v18, v22, vcc_lo
	v_add3_u32 v19, v19, v15, 0x7fff
	v_cmp_u_f32_e32 vcc_lo, v15, v15
	v_and_b32_e32 v12, 0xffff0000, v12
	v_or_b32_e32 v20, 0x400000, v16
	v_and_b32_e32 v22, 0xffff0000, v18
	v_add_f32_e32 v21, 0, v21
	v_add3_u32 v14, v14, v16, 0x7fff
	v_cndmask_b32_e32 v19, v19, v11, vcc_lo
	v_cmp_u_f32_e32 vcc_lo, v16, v16
	v_add_f32_e32 v22, 0, v22
	v_add_f32_e32 v12, v12, v24
	v_bfe_u32 v24, v21, 16, 1
	v_or_b32_e32 v11, 0x400000, v21
	v_cndmask_b32_e32 v20, v14, v20, vcc_lo
	v_bfe_u32 v25, v22, 16, 1
	v_or_b32_e32 v15, 0x400000, v22
	v_cmp_u_f32_e32 vcc_lo, v22, v22
	v_add3_u32 v24, v24, v21, 0x7fff
	v_add_f32_e32 v23, v23, v27
	v_add3_u32 v25, v25, v22, 0x7fff
	v_and_b32_e32 v16, 0xffff0000, v19
	v_or_b32_e32 v22, 0x400000, v12
	v_and_b32_e32 v10, 0xffff0000, v10
	v_and_b32_e32 v13, 0xffff0000, v13
	v_cndmask_b32_e32 v14, v25, v15, vcc_lo
	v_cmp_u_f32_e32 vcc_lo, v21, v21
	v_bfe_u32 v15, v12, 16, 1
	v_and_b32_e32 v21, 0xffff0000, v20
	v_or_b32_e32 v25, 0x400000, v23
	v_and_b32_e32 v14, 0xffff0000, v14
	v_cndmask_b32_e32 v11, v24, v11, vcc_lo
	v_bfe_u32 v24, v23, 16, 1
	v_add3_u32 v15, v15, v12, 0x7fff
	v_cmp_u_f32_e32 vcc_lo, v12, v12
	v_add_f32_e32 v14, v14, v16
	v_and_b32_e32 v11, 0xffff0000, v11
	v_add3_u32 v16, v24, v23, 0x7fff
	v_add_f32_e32 v10, v10, v28
	v_add_f32_e32 v13, v13, v29
	v_bfe_u32 v24, v14, 16, 1
	v_add_f32_e32 v11, v11, v21
	v_cndmask_b32_e32 v21, v15, v22, vcc_lo
	v_cmp_u_f32_e32 vcc_lo, v23, v23
	v_or_b32_e32 v12, 0x400000, v14
	v_add3_u32 v24, v24, v14, 0x7fff
	v_bfe_u32 v26, v11, 16, 1
	v_or_b32_e32 v15, 0x400000, v11
	v_cndmask_b32_e32 v22, v16, v25, vcc_lo
	v_cmp_u_f32_e32 vcc_lo, v11, v11
	v_bfe_u32 v16, v10, 16, 1
	v_add3_u32 v26, v26, v11, 0x7fff
	v_or_b32_e32 v23, 0x400000, v10
	v_cndmask_b32_e32 v11, v26, v15, vcc_lo
	v_cmp_u_f32_e32 vcc_lo, v14, v14
	v_and_b32_e32 v14, 0xffff0000, v22
	v_and_b32_e32 v15, 0xffff0000, v21
	;; [unrolled: 1-line block ×3, first 2 shown]
	v_cndmask_b32_e32 v12, v24, v12, vcc_lo
	v_bfe_u32 v24, v13, 16, 1
	v_cmp_u_f32_e32 vcc_lo, v10, v10
	v_add_f32_e32 v11, v11, v14
	v_and_b32_e32 v12, 0xffff0000, v12
	v_or_b32_e32 v14, 0x400000, v13
	v_add_f32_e32 v12, v12, v15
	v_add3_u32 v15, v16, v10, 0x7fff
	v_add3_u32 v16, v24, v13, 0x7fff
	v_bfe_u32 v24, v11, 16, 1
	v_or_b32_e32 v10, 0x400000, v11
	v_bfe_u32 v25, v12, 16, 1
	v_cndmask_b32_e32 v23, v15, v23, vcc_lo
	v_cmp_u_f32_e32 vcc_lo, v13, v13
	v_add3_u32 v26, v24, v11, 0x7fff
	v_or_b32_e32 v15, 0x400000, v12
	v_add3_u32 v25, v25, v12, 0x7fff
	v_and_b32_e32 v13, 0xffff0000, v23
	v_cndmask_b32_e32 v24, v16, v14, vcc_lo
	v_cmp_u_f32_e32 vcc_lo, v11, v11
	v_cndmask_b32_e32 v10, v26, v10, vcc_lo
	v_cmp_u_f32_e32 vcc_lo, v12, v12
	v_and_b32_e32 v12, 0xffff0000, v24
	v_and_b32_e32 v10, 0xffff0000, v10
	v_cndmask_b32_e32 v11, v25, v15, vcc_lo
	v_add_f32_e32 v10, v10, v12
	v_and_b32_e32 v11, 0xffff0000, v11
	v_bfe_u32 v12, v10, 16, 1
	v_add_f32_e32 v11, v11, v13
	v_or_b32_e32 v14, 0x400000, v10
	v_cmp_u_f32_e32 vcc_lo, v10, v10
	v_add3_u32 v12, v12, v10, 0x7fff
	v_bfe_u32 v13, v11, 16, 1
	v_or_b32_e32 v15, 0x400000, v11
	v_cndmask_b32_e32 v10, v12, v14, vcc_lo
	v_add3_u32 v13, v13, v11, 0x7fff
	v_cmp_u_f32_e32 vcc_lo, v11, v11
	v_mbcnt_lo_u32_b32 v14, -1, 0
	v_and_b32_e32 v10, 0xffff0000, v10
	v_cndmask_b32_e32 v11, v13, v15, vcc_lo
	v_xor_b32_e32 v12, 16, v14
	v_xor_b32_e32 v25, 1, v14
	v_and_b32_e32 v11, 0xffff0000, v11
	v_cmp_gt_i32_e32 vcc_lo, 32, v12
	v_add_f32_e32 v10, v11, v10
	v_cndmask_b32_e32 v12, v14, v12, vcc_lo
	v_bfe_u32 v11, v10, 16, 1
	v_or_b32_e32 v13, 0x400000, v10
	v_cmp_u_f32_e32 vcc_lo, v10, v10
	v_add3_u32 v11, v11, v10, 0x7fff
	v_lshlrev_b32_e32 v10, 2, v12
	v_cndmask_b32_e32 v11, v11, v13, vcc_lo
	v_and_b32_e32 v12, 0xffff0000, v11
	v_xor_b32_e32 v11, 8, v14
	ds_bpermute_b32 v13, v10, v12
	v_cmp_gt_i32_e32 vcc_lo, 32, v11
	v_cndmask_b32_e32 v11, v14, v11, vcc_lo
	v_lshlrev_b32_e32 v11, 2, v11
	s_waitcnt lgkmcnt(0)
	v_add_f32_e32 v13, v12, v13
	v_xor_b32_e32 v12, 4, v14
	ds_bpermute_b32 v15, v11, v13
	v_cmp_gt_i32_e32 vcc_lo, 32, v12
	v_cndmask_b32_e32 v12, v14, v12, vcc_lo
	v_lshlrev_b32_e32 v12, 2, v12
	s_waitcnt lgkmcnt(0)
	v_add_f32_e32 v15, v13, v15
	v_xor_b32_e32 v13, 2, v14
	ds_bpermute_b32 v16, v12, v15
	v_cmp_gt_i32_e32 vcc_lo, 32, v13
	v_cndmask_b32_e32 v13, v14, v13, vcc_lo
	v_cmp_gt_i32_e32 vcc_lo, 32, v25
	v_lshlrev_b32_e32 v13, 2, v13
	v_cndmask_b32_e32 v14, v14, v25, vcc_lo
	v_mov_b32_e32 v25, 0
	v_lshlrev_b32_e32 v14, 2, v14
	s_waitcnt lgkmcnt(0)
	v_add_f32_e32 v15, v15, v16
	ds_bpermute_b32 v16, v13, v15
	s_waitcnt lgkmcnt(0)
	v_add_f32_e32 v26, v15, v16
	v_and_b32_e32 v15, 31, v0
	v_lshrrev_b32_e32 v16, 3, v0
	ds_bpermute_b32 v27, v14, v26
	v_cmp_eq_u32_e64 s1, 0, v15
	s_and_saveexec_b32 s0, s1
	s_cbranch_execz .LBB17_2
; %bb.1:
	s_waitcnt lgkmcnt(0)
	v_add_f32_e32 v26, v26, v27
	ds_write_b32 v16, v26
.LBB17_2:
	s_or_b32 exec_lo, exec_lo, s0
	s_lshr_b32 s0, s6, 5
	v_lshlrev_b32_e32 v15, 2, v15
	v_cmp_gt_u32_e64 s0, s0, v0
	s_waitcnt lgkmcnt(0)
	s_barrier
	buffer_gl0_inv
	s_and_saveexec_b32 s2, s0
; %bb.3:
	ds_read_b32 v25, v15
; %bb.4:
	s_or_b32 exec_lo, exec_lo, s2
	s_waitcnt lgkmcnt(0)
	ds_bpermute_b32 v26, v10, v25
	v_perm_b32 v20, v20, v19, 0x7060302
	v_perm_b32 v19, v22, v21, 0x7060302
	v_cmp_eq_u32_e64 s2, 0, v0
	v_cvt_f32_i32_e32 v0, s9
	s_waitcnt lgkmcnt(0)
	v_add_f32_e32 v25, v25, v26
	ds_bpermute_b32 v26, v11, v25
	s_waitcnt lgkmcnt(0)
	v_add_f32_e32 v25, v25, v26
	ds_bpermute_b32 v26, v12, v25
	;; [unrolled: 3-line block ×3, first 2 shown]
	s_waitcnt lgkmcnt(0)
	v_add_f32_e32 v26, v25, v26
	v_perm_b32 v25, v17, v18, 0x7060302
	v_perm_b32 v18, v24, v23, 0x7060302
	ds_bpermute_b32 v27, v14, v26
	s_and_saveexec_b32 s3, s2
	s_cbranch_execz .LBB17_6
; %bb.5:
	s_waitcnt lgkmcnt(0)
	v_add_f32_e32 v17, v26, v27
	v_div_scale_f32 v21, null, v0, v0, v17
	v_div_scale_f32 v24, vcc_lo, v17, v0, v17
	v_rcp_f32_e32 v22, v21
	v_fma_f32 v23, -v21, v22, 1.0
	v_fmac_f32_e32 v22, v23, v22
	v_mul_f32_e32 v23, v24, v22
	v_fma_f32 v26, -v21, v23, v24
	v_fmac_f32_e32 v23, v26, v22
	v_fma_f32 v21, -v21, v23, v24
	v_div_fmas_f32 v21, v21, v22, v23
	v_div_fixup_f32 v17, v21, v0, v17
	v_mov_b32_e32 v21, 0
	ds_write_b32 v21, v17 offset:132
.LBB17_6:
	s_or_b32 exec_lo, exec_lo, s3
	v_mov_b32_e32 v17, 0
	s_waitcnt lgkmcnt(0)
	s_barrier
	buffer_gl0_inv
	v_lshlrev_b32_e32 v26, 16, v18
	ds_read_b32 v21, v17 offset:132
	v_and_b32_e32 v18, 0xffff0000, v18
	v_lshlrev_b32_e32 v24, 16, v20
	v_and_b32_e32 v20, 0xffff0000, v20
	s_waitcnt lgkmcnt(0)
	v_bfe_u32 v22, v21, 16, 1
	v_or_b32_e32 v23, 0x400000, v21
	v_cmp_u_f32_e32 vcc_lo, v21, v21
	v_add_nc_u32_e32 v22, v22, v21
	v_add_nc_u32_e32 v22, 0x7fff, v22
	v_cndmask_b32_e32 v21, v22, v23, vcc_lo
	v_lshlrev_b32_e32 v22, 16, v25
	v_and_b32_e32 v23, 0xffff0000, v25
	v_lshlrev_b32_e32 v25, 16, v19
	v_and_b32_e32 v19, 0xffff0000, v19
	v_and_b32_e32 v21, 0xffff0000, v21
	v_sub_f32_e32 v22, v22, v21
	v_sub_f32_e32 v23, v23, v21
	;; [unrolled: 1-line block ×5, first 2 shown]
	v_bfe_u32 v18, v22, 16, 1
	v_sub_f32_e32 v28, v19, v21
	v_or_b32_e32 v19, 0x400000, v22
	v_bfe_u32 v20, v23, 16, 1
	v_cmp_u_f32_e32 vcc_lo, v22, v22
	v_add3_u32 v18, v18, v22, 0x7fff
	v_sub_f32_e32 v25, v25, v21
	v_sub_f32_e32 v26, v26, v21
	v_or_b32_e32 v21, 0x400000, v23
	v_bfe_u32 v30, v24, 16, 1
	v_add3_u32 v20, v20, v23, 0x7fff
	v_cndmask_b32_e32 v18, v18, v19, vcc_lo
	v_cmp_u_f32_e32 vcc_lo, v23, v23
	v_or_b32_e32 v31, 0x400000, v24
	v_bfe_u32 v32, v27, 16, 1
	v_add3_u32 v30, v30, v24, 0x7fff
	v_or_b32_e32 v33, 0x400000, v27
	v_cndmask_b32_e32 v19, v20, v21, vcc_lo
	v_cmp_u_f32_e32 vcc_lo, v24, v24
	v_bfe_u32 v34, v25, 16, 1
	v_add3_u32 v32, v32, v27, 0x7fff
	v_or_b32_e32 v35, 0x400000, v25
	v_bfe_u32 v36, v28, 16, 1
	v_cndmask_b32_e32 v20, v30, v31, vcc_lo
	v_cmp_u_f32_e32 vcc_lo, v27, v27
	v_add3_u32 v34, v34, v25, 0x7fff
	v_or_b32_e32 v37, 0x400000, v28
	v_bfe_u32 v38, v26, 16, 1
	v_add3_u32 v36, v36, v28, 0x7fff
	v_cndmask_b32_e32 v21, v32, v33, vcc_lo
	v_cmp_u_f32_e32 vcc_lo, v25, v25
	v_or_b32_e32 v39, 0x400000, v26
	v_bfe_u32 v40, v29, 16, 1
	v_add3_u32 v38, v38, v26, 0x7fff
	v_or_b32_e32 v41, 0x400000, v29
	v_cndmask_b32_e32 v22, v34, v35, vcc_lo
	v_cmp_u_f32_e32 vcc_lo, v28, v28
	v_add3_u32 v40, v40, v29, 0x7fff
	v_and_b32_e32 v25, 0xffff0000, v19
	v_and_b32_e32 v27, 0xffff0000, v18
	;; [unrolled: 1-line block ×3, first 2 shown]
	v_cndmask_b32_e32 v23, v36, v37, vcc_lo
	v_cmp_u_f32_e32 vcc_lo, v26, v26
	v_and_b32_e32 v26, 0xffff0000, v21
	v_mul_f32_e32 v31, v25, v25
	v_and_b32_e32 v30, 0xffff0000, v23
	v_cndmask_b32_e32 v24, v38, v39, vcc_lo
	v_cmp_u_f32_e32 vcc_lo, v29, v29
	v_mul_f32_e32 v26, v26, v26
	v_and_b32_e32 v29, 0xffff0000, v22
	v_mul_f32_e32 v30, v30, v30
	v_fmac_f32_e32 v31, v27, v27
	v_cndmask_b32_e32 v25, v40, v41, vcc_lo
	v_fmac_f32_e32 v26, v28, v28
	v_and_b32_e32 v28, 0xffff0000, v24
	v_fmac_f32_e32 v30, v29, v29
	v_and_b32_e32 v27, 0xffff0000, v25
	v_add_f32_e32 v26, v31, v26
	v_mul_f32_e32 v27, v27, v27
	v_add_f32_e32 v26, v26, v30
	v_fmac_f32_e32 v27, v28, v28
	v_add_f32_e32 v26, v26, v27
	ds_bpermute_b32 v27, v10, v26
	s_waitcnt lgkmcnt(0)
	v_add_f32_e32 v26, v26, v27
	ds_bpermute_b32 v27, v11, v26
	s_waitcnt lgkmcnt(0)
	;; [unrolled: 3-line block ×4, first 2 shown]
	v_add_f32_e32 v26, v26, v27
	ds_bpermute_b32 v27, v14, v26
	s_and_saveexec_b32 s3, s1
	s_cbranch_execz .LBB17_8
; %bb.7:
	s_waitcnt lgkmcnt(0)
	v_add_f32_e32 v26, v26, v27
	ds_write_b32 v16, v26
.LBB17_8:
	s_or_b32 exec_lo, exec_lo, s3
	s_load_dwordx4 s[4:7], s[4:5], 0x18
	s_waitcnt lgkmcnt(0)
	s_barrier
	buffer_gl0_inv
	s_and_saveexec_b32 s1, s0
; %bb.9:
	ds_read_b32 v17, v15
; %bb.10:
	s_or_b32 exec_lo, exec_lo, s1
	s_waitcnt lgkmcnt(0)
	ds_bpermute_b32 v10, v10, v17
	s_waitcnt lgkmcnt(0)
	v_add_f32_e32 v10, v17, v10
	ds_bpermute_b32 v11, v11, v10
	s_waitcnt lgkmcnt(0)
	v_add_f32_e32 v10, v10, v11
	ds_bpermute_b32 v11, v12, v10
	v_perm_b32 v12, v21, v20, 0x7060302
	s_waitcnt lgkmcnt(0)
	v_add_f32_e32 v10, v10, v11
	ds_bpermute_b32 v11, v13, v10
	v_perm_b32 v13, v19, v18, 0x7060302
	s_waitcnt lgkmcnt(0)
	v_add_f32_e32 v15, v10, v11
	v_perm_b32 v11, v23, v22, 0x7060302
	v_perm_b32 v10, v25, v24, 0x7060302
	ds_bpermute_b32 v14, v14, v15
	s_and_saveexec_b32 s0, s2
	s_cbranch_execz .LBB17_12
; %bb.11:
	s_waitcnt lgkmcnt(0)
	v_add_f32_e32 v14, v15, v14
	v_div_scale_f32 v15, null, v0, v0, v14
	v_div_scale_f32 v18, vcc_lo, v14, v0, v14
	v_rcp_f32_e32 v16, v15
	v_fma_f32 v17, -v15, v16, 1.0
	v_fmac_f32_e32 v16, v17, v16
	v_mul_f32_e32 v17, v18, v16
	v_fma_f32 v19, -v15, v17, v18
	v_fmac_f32_e32 v17, v19, v16
	v_fma_f32 v15, -v15, v17, v18
	v_div_fmas_f32 v15, v15, v16, v17
	v_div_fixup_f32 v0, v15, v0, v14
	v_add_f32_e32 v0, s8, v0
	v_mul_f32_e32 v14, 0x4b800000, v0
	v_cmp_gt_f32_e32 vcc_lo, 0x800000, v0
	v_cndmask_b32_e32 v0, v0, v14, vcc_lo
	v_rsq_f32_e32 v0, v0
	v_mul_f32_e32 v14, 0x45800000, v0
	v_cndmask_b32_e32 v0, v0, v14, vcc_lo
	v_mov_b32_e32 v14, 0
	ds_write_b32 v14, v0 offset:128
.LBB17_12:
	s_or_b32 exec_lo, exec_lo, s0
	v_add_co_u32 v0, s0, s4, v9
	v_add_co_ci_u32_e64 v17, null, s5, 0, s0
	s_waitcnt lgkmcnt(0)
	v_add_co_u32 v14, s0, s6, v9
	v_add_co_ci_u32_e64 v15, null, s7, 0, s0
	s_barrier
	buffer_gl0_inv
	s_clause 0x1
	global_load_dword v18, v9, s[6:7]
	global_load_dword v9, v9, s[4:5]
	v_add_co_u32 v14, vcc_lo, v14, s10
	v_add_co_ci_u32_e64 v15, null, 0, v15, vcc_lo
	v_add_co_u32 v16, vcc_lo, v0, s10
	v_add_co_ci_u32_e64 v17, null, 0, v17, vcc_lo
	global_load_dword v0, v[14:15], off
	global_load_dword v19, v[16:17], off
	v_add_co_u32 v14, vcc_lo, v14, s10
	v_add_co_ci_u32_e64 v15, null, 0, v15, vcc_lo
	v_add_co_u32 v16, vcc_lo, v16, s10
	v_add_co_ci_u32_e64 v17, null, 0, v17, vcc_lo
	global_load_dword v20, v[14:15], off
	global_load_dword v21, v[16:17], off
	v_add_co_u32 v14, vcc_lo, v14, s10
	v_add_co_ci_u32_e64 v15, null, 0, v15, vcc_lo
	v_add_co_u32 v16, vcc_lo, v16, s10
	v_add_co_ci_u32_e64 v17, null, 0, v17, vcc_lo
	global_load_dword v14, v[14:15], off
	global_load_dword v15, v[16:17], off
	v_mov_b32_e32 v16, 0
	v_and_b32_e32 v23, 0xffff0000, v11
	v_lshlrev_b32_e32 v11, 16, v11
	v_and_b32_e32 v24, 0xffff0000, v10
	v_lshlrev_b32_e32 v10, 16, v10
	ds_read_b32 v16, v16 offset:128
	s_waitcnt lgkmcnt(0)
	v_bfe_u32 v17, v16, 16, 1
	v_or_b32_e32 v22, 0x400000, v16
	v_cmp_u_f32_e32 vcc_lo, v16, v16
	v_add_nc_u32_e32 v17, v17, v16
	v_add_nc_u32_e32 v17, 0x7fff, v17
	v_cndmask_b32_e32 v16, v17, v22, vcc_lo
	v_and_b32_e32 v17, 0xffff0000, v13
	v_lshlrev_b32_e32 v13, 16, v13
	v_and_b32_e32 v22, 0xffff0000, v12
	v_lshlrev_b32_e32 v12, 16, v12
	v_and_b32_e32 v16, 0xffff0000, v16
	v_mul_f32_e32 v17, v16, v17
	v_mul_f32_e32 v13, v16, v13
	;; [unrolled: 1-line block ×8, first 2 shown]
	v_bfe_u32 v16, v17, 16, 1
	v_or_b32_e32 v25, 0x400000, v17
	v_bfe_u32 v26, v13, 16, 1
	v_cmp_u_f32_e32 vcc_lo, v17, v17
	v_or_b32_e32 v27, 0x400000, v13
	v_add3_u32 v16, v16, v17, 0x7fff
	v_bfe_u32 v28, v22, 16, 1
	v_add3_u32 v26, v26, v13, 0x7fff
	v_or_b32_e32 v29, 0x400000, v22
	v_bfe_u32 v30, v12, 16, 1
	v_cndmask_b32_e32 v16, v16, v25, vcc_lo
	v_cmp_u_f32_e32 vcc_lo, v13, v13
	v_add3_u32 v28, v28, v22, 0x7fff
	v_or_b32_e32 v31, 0x400000, v12
	v_bfe_u32 v32, v23, 16, 1
	v_add3_u32 v30, v30, v12, 0x7fff
	v_cndmask_b32_e32 v13, v26, v27, vcc_lo
	v_cmp_u_f32_e32 vcc_lo, v22, v22
	v_or_b32_e32 v33, 0x400000, v23
	v_bfe_u32 v34, v11, 16, 1
	v_add3_u32 v32, v32, v23, 0x7fff
	v_or_b32_e32 v35, 0x400000, v11
	v_cndmask_b32_e32 v17, v28, v29, vcc_lo
	v_cmp_u_f32_e32 vcc_lo, v12, v12
	v_bfe_u32 v36, v24, 16, 1
	v_add3_u32 v34, v34, v11, 0x7fff
	v_or_b32_e32 v37, 0x400000, v24
	v_bfe_u32 v38, v10, 16, 1
	v_cndmask_b32_e32 v12, v30, v31, vcc_lo
	v_cmp_u_f32_e32 vcc_lo, v23, v23
	v_add3_u32 v36, v36, v24, 0x7fff
	v_and_b32_e32 v13, 0xffff0000, v13
	v_or_b32_e32 v39, 0x400000, v10
	v_add3_u32 v38, v38, v10, 0x7fff
	v_cndmask_b32_e32 v22, v32, v33, vcc_lo
	v_cmp_u_f32_e32 vcc_lo, v11, v11
	v_and_b32_e32 v16, 0xffff0000, v16
	v_and_b32_e32 v12, 0xffff0000, v12
	;; [unrolled: 1-line block ×3, first 2 shown]
	v_cndmask_b32_e32 v11, v34, v35, vcc_lo
	v_cmp_u_f32_e32 vcc_lo, v24, v24
	v_and_b32_e32 v11, 0xffff0000, v11
	v_cndmask_b32_e32 v23, v36, v37, vcc_lo
	v_cmp_u_f32_e32 vcc_lo, v10, v10
	v_cndmask_b32_e32 v10, v38, v39, vcc_lo
	s_waitcnt vmcnt(7)
	v_lshlrev_b32_e32 v24, 16, v18
	s_waitcnt vmcnt(6)
	v_lshlrev_b32_e32 v25, 16, v9
	v_and_b32_e32 v18, 0xffff0000, v18
	v_and_b32_e32 v9, 0xffff0000, v9
	v_fmac_f32_e32 v24, v13, v25
	v_and_b32_e32 v13, 0xffff0000, v22
	v_fmac_f32_e32 v18, v16, v9
	v_and_b32_e32 v9, 0xffff0000, v10
	v_and_b32_e32 v10, 0xffff0000, v23
	v_bfe_u32 v16, v24, 16, 1
	s_waitcnt vmcnt(5)
	v_lshlrev_b32_e32 v25, 16, v0
	s_waitcnt vmcnt(4)
	v_lshlrev_b32_e32 v26, 16, v19
	v_or_b32_e32 v22, 0x400000, v24
	v_bfe_u32 v23, v18, 16, 1
	v_and_b32_e32 v0, 0xffff0000, v0
	v_and_b32_e32 v19, 0xffff0000, v19
	v_add3_u32 v16, v16, v24, 0x7fff
	v_fmac_f32_e32 v25, v12, v26
	v_cmp_u_f32_e32 vcc_lo, v24, v24
	v_or_b32_e32 v27, 0x400000, v18
	v_add3_u32 v23, v23, v18, 0x7fff
	v_fmac_f32_e32 v0, v17, v19
	s_waitcnt vmcnt(3)
	v_lshlrev_b32_e32 v12, 16, v20
	s_waitcnt vmcnt(2)
	v_lshlrev_b32_e32 v17, 16, v21
	v_and_b32_e32 v19, 0xffff0000, v20
	v_and_b32_e32 v20, 0xffff0000, v21
	v_cndmask_b32_e32 v16, v16, v22, vcc_lo
	v_cmp_u_f32_e32 vcc_lo, v18, v18
	v_bfe_u32 v21, v25, 16, 1
	v_or_b32_e32 v22, 0x400000, v25
	v_fmac_f32_e32 v12, v11, v17
	v_fmac_f32_e32 v19, v13, v20
	v_cndmask_b32_e32 v18, v23, v27, vcc_lo
	v_bfe_u32 v23, v0, 16, 1
	s_waitcnt vmcnt(1)
	v_lshlrev_b32_e32 v11, 16, v14
	s_waitcnt vmcnt(0)
	v_lshlrev_b32_e32 v13, 16, v15
	v_add3_u32 v17, v21, v25, 0x7fff
	v_cmp_u_f32_e32 vcc_lo, v25, v25
	v_or_b32_e32 v24, 0x400000, v0
	v_and_b32_e32 v14, 0xffff0000, v14
	v_and_b32_e32 v15, 0xffff0000, v15
	v_add3_u32 v20, v23, v0, 0x7fff
	v_bfe_u32 v21, v12, 16, 1
	v_fmac_f32_e32 v11, v9, v13
	v_cndmask_b32_e32 v9, v17, v22, vcc_lo
	v_cmp_u_f32_e32 vcc_lo, v0, v0
	v_or_b32_e32 v23, 0x400000, v12
	v_bfe_u32 v26, v19, 16, 1
	v_fmac_f32_e32 v14, v10, v15
	v_add3_u32 v10, v21, v12, 0x7fff
	v_cndmask_b32_e32 v0, v20, v24, vcc_lo
	v_cmp_u_f32_e32 vcc_lo, v12, v12
	v_or_b32_e32 v27, 0x400000, v19
	v_add3_u32 v13, v26, v19, 0x7fff
	v_bfe_u32 v15, v11, 16, 1
	v_or_b32_e32 v17, 0x400000, v11
	v_cndmask_b32_e32 v10, v10, v23, vcc_lo
	v_cmp_u_f32_e32 vcc_lo, v19, v19
	v_bfe_u32 v20, v14, 16, 1
	v_add3_u32 v12, v15, v11, 0x7fff
	v_or_b32_e32 v21, 0x400000, v14
	v_perm_b32 v0, v0, v9, 0x7060302
	v_cndmask_b32_e32 v13, v13, v27, vcc_lo
	v_cmp_u_f32_e32 vcc_lo, v11, v11
	v_add3_u32 v15, v20, v14, 0x7fff
	v_perm_b32 v9, v13, v10, 0x7060302
	v_cndmask_b32_e32 v11, v12, v17, vcc_lo
	v_cmp_u_f32_e32 vcc_lo, v14, v14
	v_perm_b32 v14, v18, v16, 0x7060302
	v_cndmask_b32_e32 v12, v15, v21, vcc_lo
	v_perm_b32 v10, v12, v11, 0x7060302
	global_store_dword v[1:2], v14, off
	global_store_dword v[3:4], v0, off
	;; [unrolled: 1-line block ×4, first 2 shown]
	s_endpgm
	.section	.rodata,"a",@progbits
	.p2align	6, 0x0
	.amdhsa_kernel _Z30addBiasResidualPostLayerNormV2I14__hip_bfloat16Li32EEvPT_PKS1_S4_S4_S4_fi
		.amdhsa_group_segment_fixed_size 136
		.amdhsa_private_segment_fixed_size 0
		.amdhsa_kernarg_size 304
		.amdhsa_user_sgpr_count 6
		.amdhsa_user_sgpr_private_segment_buffer 1
		.amdhsa_user_sgpr_dispatch_ptr 0
		.amdhsa_user_sgpr_queue_ptr 0
		.amdhsa_user_sgpr_kernarg_segment_ptr 1
		.amdhsa_user_sgpr_dispatch_id 0
		.amdhsa_user_sgpr_flat_scratch_init 0
		.amdhsa_user_sgpr_private_segment_size 0
		.amdhsa_wavefront_size32 1
		.amdhsa_uses_dynamic_stack 0
		.amdhsa_system_sgpr_private_segment_wavefront_offset 0
		.amdhsa_system_sgpr_workgroup_id_x 1
		.amdhsa_system_sgpr_workgroup_id_y 0
		.amdhsa_system_sgpr_workgroup_id_z 0
		.amdhsa_system_sgpr_workgroup_info 0
		.amdhsa_system_vgpr_workitem_id 0
		.amdhsa_next_free_vgpr 42
		.amdhsa_next_free_sgpr 12
		.amdhsa_reserve_vcc 1
		.amdhsa_reserve_flat_scratch 0
		.amdhsa_float_round_mode_32 0
		.amdhsa_float_round_mode_16_64 0
		.amdhsa_float_denorm_mode_32 3
		.amdhsa_float_denorm_mode_16_64 3
		.amdhsa_dx10_clamp 1
		.amdhsa_ieee_mode 1
		.amdhsa_fp16_overflow 0
		.amdhsa_workgroup_processor_mode 1
		.amdhsa_memory_ordered 1
		.amdhsa_forward_progress 1
		.amdhsa_shared_vgpr_count 0
		.amdhsa_exception_fp_ieee_invalid_op 0
		.amdhsa_exception_fp_denorm_src 0
		.amdhsa_exception_fp_ieee_div_zero 0
		.amdhsa_exception_fp_ieee_overflow 0
		.amdhsa_exception_fp_ieee_underflow 0
		.amdhsa_exception_fp_ieee_inexact 0
		.amdhsa_exception_int_div_zero 0
	.end_amdhsa_kernel
	.section	.text._Z30addBiasResidualPostLayerNormV2I14__hip_bfloat16Li32EEvPT_PKS1_S4_S4_S4_fi,"axG",@progbits,_Z30addBiasResidualPostLayerNormV2I14__hip_bfloat16Li32EEvPT_PKS1_S4_S4_S4_fi,comdat
.Lfunc_end17:
	.size	_Z30addBiasResidualPostLayerNormV2I14__hip_bfloat16Li32EEvPT_PKS1_S4_S4_S4_fi, .Lfunc_end17-_Z30addBiasResidualPostLayerNormV2I14__hip_bfloat16Li32EEvPT_PKS1_S4_S4_S4_fi
                                        ; -- End function
	.set _Z30addBiasResidualPostLayerNormV2I14__hip_bfloat16Li32EEvPT_PKS1_S4_S4_S4_fi.num_vgpr, 42
	.set _Z30addBiasResidualPostLayerNormV2I14__hip_bfloat16Li32EEvPT_PKS1_S4_S4_S4_fi.num_agpr, 0
	.set _Z30addBiasResidualPostLayerNormV2I14__hip_bfloat16Li32EEvPT_PKS1_S4_S4_S4_fi.numbered_sgpr, 12
	.set _Z30addBiasResidualPostLayerNormV2I14__hip_bfloat16Li32EEvPT_PKS1_S4_S4_S4_fi.num_named_barrier, 0
	.set _Z30addBiasResidualPostLayerNormV2I14__hip_bfloat16Li32EEvPT_PKS1_S4_S4_S4_fi.private_seg_size, 0
	.set _Z30addBiasResidualPostLayerNormV2I14__hip_bfloat16Li32EEvPT_PKS1_S4_S4_S4_fi.uses_vcc, 1
	.set _Z30addBiasResidualPostLayerNormV2I14__hip_bfloat16Li32EEvPT_PKS1_S4_S4_S4_fi.uses_flat_scratch, 0
	.set _Z30addBiasResidualPostLayerNormV2I14__hip_bfloat16Li32EEvPT_PKS1_S4_S4_S4_fi.has_dyn_sized_stack, 0
	.set _Z30addBiasResidualPostLayerNormV2I14__hip_bfloat16Li32EEvPT_PKS1_S4_S4_S4_fi.has_recursion, 0
	.set _Z30addBiasResidualPostLayerNormV2I14__hip_bfloat16Li32EEvPT_PKS1_S4_S4_S4_fi.has_indirect_call, 0
	.section	.AMDGPU.csdata,"",@progbits
; Kernel info:
; codeLenInByte = 4508
; TotalNumSgprs: 14
; NumVgprs: 42
; ScratchSize: 0
; MemoryBound: 0
; FloatMode: 240
; IeeeMode: 1
; LDSByteSize: 136 bytes/workgroup (compile time only)
; SGPRBlocks: 0
; VGPRBlocks: 5
; NumSGPRsForWavesPerEU: 14
; NumVGPRsForWavesPerEU: 42
; Occupancy: 16
; WaveLimiterHint : 0
; COMPUTE_PGM_RSRC2:SCRATCH_EN: 0
; COMPUTE_PGM_RSRC2:USER_SGPR: 6
; COMPUTE_PGM_RSRC2:TRAP_HANDLER: 0
; COMPUTE_PGM_RSRC2:TGID_X_EN: 1
; COMPUTE_PGM_RSRC2:TGID_Y_EN: 0
; COMPUTE_PGM_RSRC2:TGID_Z_EN: 0
; COMPUTE_PGM_RSRC2:TIDIG_COMP_CNT: 0
	.section	.text._Z28addBiasResidualPostLayerNormI14__hip_bfloat16Li1ELi64EEvPT_PKS1_S4_S4_S4_fi,"axG",@progbits,_Z28addBiasResidualPostLayerNormI14__hip_bfloat16Li1ELi64EEvPT_PKS1_S4_S4_S4_fi,comdat
	.protected	_Z28addBiasResidualPostLayerNormI14__hip_bfloat16Li1ELi64EEvPT_PKS1_S4_S4_S4_fi ; -- Begin function _Z28addBiasResidualPostLayerNormI14__hip_bfloat16Li1ELi64EEvPT_PKS1_S4_S4_S4_fi
	.globl	_Z28addBiasResidualPostLayerNormI14__hip_bfloat16Li1ELi64EEvPT_PKS1_S4_S4_S4_fi
	.p2align	8
	.type	_Z28addBiasResidualPostLayerNormI14__hip_bfloat16Li1ELi64EEvPT_PKS1_S4_S4_S4_fi,@function
_Z28addBiasResidualPostLayerNormI14__hip_bfloat16Li1ELi64EEvPT_PKS1_S4_S4_S4_fi: ; @_Z28addBiasResidualPostLayerNormI14__hip_bfloat16Li1ELi64EEvPT_PKS1_S4_S4_S4_fi
; %bb.0:
	s_clause 0x1
	s_load_dwordx2 s[10:11], s[4:5], 0x28
	s_load_dwordx2 s[8:9], s[4:5], 0x0
	v_mov_b32_e32 v5, 0
	v_lshlrev_b32_e32 v1, 1, v0
                                        ; implicit-def: $vgpr2
	s_waitcnt lgkmcnt(0)
	v_cmp_gt_i32_e64 s0, s11, v0
	s_and_saveexec_b32 s1, s0
	s_cbranch_execz .LBB18_2
; %bb.1:
	s_load_dwordx4 s[12:15], s[4:5], 0x8
	v_mad_u64_u32 v[2:3], null, s11, s6, v[0:1]
	v_mov_b32_e32 v3, 0
	v_mov_b32_e32 v8, v3
	v_lshlrev_b64 v[4:5], 1, v[2:3]
	v_mov_b32_e32 v2, v3
	v_add_co_u32 v6, vcc_lo, s8, v4
	v_add_co_ci_u32_e64 v7, null, s9, v5, vcc_lo
	s_waitcnt lgkmcnt(0)
	v_add_co_u32 v4, vcc_lo, s12, v4
	v_add_co_ci_u32_e64 v5, null, s13, v5, vcc_lo
	global_load_short_d16_hi v2, v[6:7], off
	global_load_short_d16_hi v8, v[4:5], off
	global_load_short_d16_hi v3, v1, s[14:15]
	s_waitcnt vmcnt(1)
	v_add_f32_e32 v2, v2, v8
	v_bfe_u32 v4, v2, 16, 1
	v_or_b32_e32 v5, 0x400000, v2
	v_cmp_u_f32_e32 vcc_lo, v2, v2
	v_add3_u32 v4, v4, v2, 0x7fff
	v_cndmask_b32_e32 v2, v4, v5, vcc_lo
	v_and_b32_e32 v2, 0xffff0000, v2
	s_waitcnt vmcnt(0)
	v_add_f32_e32 v2, v2, v3
	v_bfe_u32 v3, v2, 16, 1
	v_or_b32_e32 v4, 0x400000, v2
	v_cmp_u_f32_e32 vcc_lo, v2, v2
	v_add3_u32 v3, v3, v2, 0x7fff
	v_cndmask_b32_e32 v2, v3, v4, vcc_lo
	v_and_b32_e32 v2, 0xffff0000, v2
	v_add_f32_e32 v5, 0, v2
.LBB18_2:
	s_or_b32 exec_lo, exec_lo, s1
	v_mbcnt_lo_u32_b32 v8, -1, 0
	v_or_b32_e32 v3, 32, v8
	v_xor_b32_e32 v4, 16, v8
	v_xor_b32_e32 v11, 1, v8
	v_cmp_gt_i32_e32 vcc_lo, 64, v3
	v_cndmask_b32_e32 v3, v8, v3, vcc_lo
	v_cmp_gt_i32_e32 vcc_lo, 64, v4
	v_lshlrev_b32_e32 v3, 2, v3
	v_cndmask_b32_e32 v4, v8, v4, vcc_lo
	ds_bpermute_b32 v6, v3, v5
	v_lshlrev_b32_e32 v4, 2, v4
	s_waitcnt lgkmcnt(0)
	v_add_f32_e32 v6, v5, v6
	v_xor_b32_e32 v5, 8, v8
	ds_bpermute_b32 v7, v4, v6
	v_cmp_gt_i32_e32 vcc_lo, 64, v5
	v_cndmask_b32_e32 v5, v8, v5, vcc_lo
	v_lshlrev_b32_e32 v5, 2, v5
	s_waitcnt lgkmcnt(0)
	v_add_f32_e32 v7, v6, v7
	v_xor_b32_e32 v6, 4, v8
	ds_bpermute_b32 v9, v5, v7
	v_cmp_gt_i32_e32 vcc_lo, 64, v6
	v_cndmask_b32_e32 v6, v8, v6, vcc_lo
	;; [unrolled: 7-line block ×3, first 2 shown]
	v_cmp_gt_i32_e32 vcc_lo, 64, v11
	v_lshlrev_b32_e32 v7, 2, v7
	v_cndmask_b32_e32 v8, v8, v11, vcc_lo
	v_lshlrev_b32_e32 v8, 2, v8
	s_waitcnt lgkmcnt(0)
	v_add_f32_e32 v9, v9, v10
	ds_bpermute_b32 v10, v7, v9
	s_waitcnt lgkmcnt(0)
	v_add_f32_e32 v11, v9, v10
	v_and_b32_e32 v9, 63, v0
	v_lshrrev_b32_e32 v10, 4, v0
	ds_bpermute_b32 v12, v8, v11
	v_cmp_eq_u32_e64 s1, 0, v9
	s_and_saveexec_b32 s2, s1
	s_cbranch_execz .LBB18_4
; %bb.3:
	s_waitcnt lgkmcnt(0)
	v_add_f32_e32 v11, v11, v12
	ds_write_b32 v10, v11
.LBB18_4:
	s_or_b32 exec_lo, exec_lo, s2
	s_waitcnt lgkmcnt(0)
	s_barrier
	buffer_gl0_inv
	s_load_dword s2, s[4:5], 0x3c
	v_mov_b32_e32 v12, 0
	v_lshlrev_b32_e32 v11, 2, v9
	s_waitcnt lgkmcnt(0)
	s_bfe_u32 s2, s2, 0xa0006
	v_cmp_gt_u32_e64 s2, s2, v0
	s_and_saveexec_b32 s3, s2
; %bb.5:
	ds_read_b32 v12, v11
; %bb.6:
	s_or_b32 exec_lo, exec_lo, s3
	s_waitcnt lgkmcnt(0)
	ds_bpermute_b32 v9, v3, v12
	v_cmp_eq_u32_e64 s3, 0, v0
	s_waitcnt lgkmcnt(0)
	v_add_f32_e32 v9, v12, v9
	ds_bpermute_b32 v12, v4, v9
	s_waitcnt lgkmcnt(0)
	v_add_f32_e32 v9, v9, v12
	ds_bpermute_b32 v12, v5, v9
	;; [unrolled: 3-line block ×4, first 2 shown]
	s_waitcnt lgkmcnt(0)
	v_add_f32_e32 v12, v9, v12
	v_cvt_f32_i32_e32 v9, s11
	ds_bpermute_b32 v13, v8, v12
	s_and_saveexec_b32 s7, s3
	s_cbranch_execz .LBB18_8
; %bb.7:
	s_waitcnt lgkmcnt(0)
	v_add_f32_e32 v12, v12, v13
	v_div_scale_f32 v13, null, v9, v9, v12
	v_div_scale_f32 v16, vcc_lo, v12, v9, v12
	v_rcp_f32_e32 v14, v13
	v_fma_f32 v15, -v13, v14, 1.0
	v_fmac_f32_e32 v14, v15, v14
	v_mul_f32_e32 v15, v16, v14
	v_fma_f32 v17, -v13, v15, v16
	v_fmac_f32_e32 v15, v17, v14
	v_fma_f32 v13, -v13, v15, v16
	v_div_fmas_f32 v13, v13, v14, v15
	v_div_fixup_f32 v12, v13, v9, v12
	v_mov_b32_e32 v13, 0
	ds_write_b32 v13, v12 offset:68
.LBB18_8:
	s_or_b32 exec_lo, exec_lo, s7
	v_mov_b32_e32 v12, 0
	s_waitcnt lgkmcnt(0)
	s_barrier
	buffer_gl0_inv
	ds_read_b32 v13, v12 offset:68
	s_waitcnt lgkmcnt(0)
	v_sub_f32_e32 v13, v2, v13
	v_mul_f32_e32 v13, v13, v13
	v_cndmask_b32_e64 v13, 0, v13, s0
	ds_bpermute_b32 v14, v3, v13
	s_waitcnt lgkmcnt(0)
	v_add_f32_e32 v13, v13, v14
	ds_bpermute_b32 v14, v4, v13
	s_waitcnt lgkmcnt(0)
	v_add_f32_e32 v13, v13, v14
	ds_bpermute_b32 v14, v5, v13
	s_waitcnt lgkmcnt(0)
	v_add_f32_e32 v13, v13, v14
	ds_bpermute_b32 v14, v6, v13
	s_waitcnt lgkmcnt(0)
	v_add_f32_e32 v13, v13, v14
	ds_bpermute_b32 v14, v7, v13
	s_waitcnt lgkmcnt(0)
	v_add_f32_e32 v13, v13, v14
	ds_bpermute_b32 v14, v8, v13
	s_and_saveexec_b32 s7, s1
	s_cbranch_execz .LBB18_10
; %bb.9:
	s_waitcnt lgkmcnt(0)
	v_add_f32_e32 v13, v13, v14
	ds_write_b32 v10, v13
.LBB18_10:
	s_or_b32 exec_lo, exec_lo, s7
	s_waitcnt lgkmcnt(0)
	s_barrier
	buffer_gl0_inv
	s_and_saveexec_b32 s1, s2
; %bb.11:
	ds_read_b32 v12, v11
; %bb.12:
	s_or_b32 exec_lo, exec_lo, s1
	s_waitcnt lgkmcnt(0)
	ds_bpermute_b32 v3, v3, v12
	s_waitcnt lgkmcnt(0)
	v_add_f32_e32 v3, v12, v3
	ds_bpermute_b32 v4, v4, v3
	s_waitcnt lgkmcnt(0)
	v_add_f32_e32 v3, v3, v4
	ds_bpermute_b32 v4, v5, v3
	s_waitcnt lgkmcnt(0)
	v_add_f32_e32 v3, v3, v4
	ds_bpermute_b32 v4, v6, v3
	s_waitcnt lgkmcnt(0)
	v_add_f32_e32 v3, v3, v4
	ds_bpermute_b32 v4, v7, v3
	s_waitcnt lgkmcnt(0)
	v_add_f32_e32 v3, v3, v4
	ds_bpermute_b32 v4, v8, v3
	s_and_saveexec_b32 s1, s3
	s_cbranch_execz .LBB18_14
; %bb.13:
	s_waitcnt lgkmcnt(0)
	v_add_f32_e32 v3, v3, v4
	v_div_scale_f32 v4, null, v9, v9, v3
	v_div_scale_f32 v7, vcc_lo, v3, v9, v3
	v_rcp_f32_e32 v5, v4
	v_fma_f32 v6, -v4, v5, 1.0
	v_fmac_f32_e32 v5, v6, v5
	v_mul_f32_e32 v6, v7, v5
	v_fma_f32 v8, -v4, v6, v7
	v_fmac_f32_e32 v6, v8, v5
	v_fma_f32 v4, -v4, v6, v7
	v_div_fmas_f32 v4, v4, v5, v6
	v_div_fixup_f32 v3, v4, v9, v3
	v_mov_b32_e32 v4, 0
	v_add_f32_e32 v3, s10, v3
	ds_write_b32 v4, v3 offset:64
.LBB18_14:
	s_or_b32 exec_lo, exec_lo, s1
	s_waitcnt lgkmcnt(0)
	s_barrier
	buffer_gl0_inv
	s_and_saveexec_b32 s1, s0
	s_cbranch_execz .LBB18_16
; %bb.15:
	s_load_dwordx4 s[0:3], s[4:5], 0x18
	v_mov_b32_e32 v6, 0
	s_waitcnt lgkmcnt(0)
	s_clause 0x1
	global_load_ushort v5, v1, s[0:1]
	global_load_ushort v1, v1, s[2:3]
	ds_read_b64 v[3:4], v6 offset:64
	s_waitcnt lgkmcnt(0)
	v_mul_f32_e32 v7, 0x4b800000, v3
	v_cmp_gt_f32_e32 vcc_lo, 0x800000, v3
	v_sub_f32_e32 v2, v2, v4
	v_cndmask_b32_e32 v3, v3, v7, vcc_lo
	v_rsq_f32_e32 v3, v3
	v_mul_f32_e32 v7, 0x45800000, v3
	v_cndmask_b32_e32 v3, v3, v7, vcc_lo
	v_mul_f32_e32 v2, v2, v3
	s_waitcnt vmcnt(1)
	v_lshlrev_b32_e32 v3, 16, v5
	s_waitcnt vmcnt(0)
	v_lshlrev_b32_e32 v4, 16, v1
	v_mad_u64_u32 v[0:1], null, s11, s6, v[0:1]
	v_mov_b32_e32 v1, v6
	v_fmac_f32_e32 v4, v2, v3
	v_lshlrev_b64 v[0:1], 1, v[0:1]
	v_bfe_u32 v2, v4, 16, 1
	v_or_b32_e32 v3, 0x400000, v4
	v_cmp_u_f32_e32 vcc_lo, v4, v4
	v_add3_u32 v2, v2, v4, 0x7fff
	v_cndmask_b32_e32 v2, v2, v3, vcc_lo
	v_add_co_u32 v0, vcc_lo, s8, v0
	v_add_co_ci_u32_e64 v1, null, s9, v1, vcc_lo
	global_store_short_d16_hi v[0:1], v2, off
.LBB18_16:
	s_endpgm
	.section	.rodata,"a",@progbits
	.p2align	6, 0x0
	.amdhsa_kernel _Z28addBiasResidualPostLayerNormI14__hip_bfloat16Li1ELi64EEvPT_PKS1_S4_S4_S4_fi
		.amdhsa_group_segment_fixed_size 72
		.amdhsa_private_segment_fixed_size 0
		.amdhsa_kernarg_size 304
		.amdhsa_user_sgpr_count 6
		.amdhsa_user_sgpr_private_segment_buffer 1
		.amdhsa_user_sgpr_dispatch_ptr 0
		.amdhsa_user_sgpr_queue_ptr 0
		.amdhsa_user_sgpr_kernarg_segment_ptr 1
		.amdhsa_user_sgpr_dispatch_id 0
		.amdhsa_user_sgpr_flat_scratch_init 0
		.amdhsa_user_sgpr_private_segment_size 0
		.amdhsa_wavefront_size32 1
		.amdhsa_uses_dynamic_stack 0
		.amdhsa_system_sgpr_private_segment_wavefront_offset 0
		.amdhsa_system_sgpr_workgroup_id_x 1
		.amdhsa_system_sgpr_workgroup_id_y 0
		.amdhsa_system_sgpr_workgroup_id_z 0
		.amdhsa_system_sgpr_workgroup_info 0
		.amdhsa_system_vgpr_workitem_id 0
		.amdhsa_next_free_vgpr 18
		.amdhsa_next_free_sgpr 16
		.amdhsa_reserve_vcc 1
		.amdhsa_reserve_flat_scratch 0
		.amdhsa_float_round_mode_32 0
		.amdhsa_float_round_mode_16_64 0
		.amdhsa_float_denorm_mode_32 3
		.amdhsa_float_denorm_mode_16_64 3
		.amdhsa_dx10_clamp 1
		.amdhsa_ieee_mode 1
		.amdhsa_fp16_overflow 0
		.amdhsa_workgroup_processor_mode 1
		.amdhsa_memory_ordered 1
		.amdhsa_forward_progress 1
		.amdhsa_shared_vgpr_count 0
		.amdhsa_exception_fp_ieee_invalid_op 0
		.amdhsa_exception_fp_denorm_src 0
		.amdhsa_exception_fp_ieee_div_zero 0
		.amdhsa_exception_fp_ieee_overflow 0
		.amdhsa_exception_fp_ieee_underflow 0
		.amdhsa_exception_fp_ieee_inexact 0
		.amdhsa_exception_int_div_zero 0
	.end_amdhsa_kernel
	.section	.text._Z28addBiasResidualPostLayerNormI14__hip_bfloat16Li1ELi64EEvPT_PKS1_S4_S4_S4_fi,"axG",@progbits,_Z28addBiasResidualPostLayerNormI14__hip_bfloat16Li1ELi64EEvPT_PKS1_S4_S4_S4_fi,comdat
.Lfunc_end18:
	.size	_Z28addBiasResidualPostLayerNormI14__hip_bfloat16Li1ELi64EEvPT_PKS1_S4_S4_S4_fi, .Lfunc_end18-_Z28addBiasResidualPostLayerNormI14__hip_bfloat16Li1ELi64EEvPT_PKS1_S4_S4_S4_fi
                                        ; -- End function
	.set _Z28addBiasResidualPostLayerNormI14__hip_bfloat16Li1ELi64EEvPT_PKS1_S4_S4_S4_fi.num_vgpr, 18
	.set _Z28addBiasResidualPostLayerNormI14__hip_bfloat16Li1ELi64EEvPT_PKS1_S4_S4_S4_fi.num_agpr, 0
	.set _Z28addBiasResidualPostLayerNormI14__hip_bfloat16Li1ELi64EEvPT_PKS1_S4_S4_S4_fi.numbered_sgpr, 16
	.set _Z28addBiasResidualPostLayerNormI14__hip_bfloat16Li1ELi64EEvPT_PKS1_S4_S4_S4_fi.num_named_barrier, 0
	.set _Z28addBiasResidualPostLayerNormI14__hip_bfloat16Li1ELi64EEvPT_PKS1_S4_S4_S4_fi.private_seg_size, 0
	.set _Z28addBiasResidualPostLayerNormI14__hip_bfloat16Li1ELi64EEvPT_PKS1_S4_S4_S4_fi.uses_vcc, 1
	.set _Z28addBiasResidualPostLayerNormI14__hip_bfloat16Li1ELi64EEvPT_PKS1_S4_S4_S4_fi.uses_flat_scratch, 0
	.set _Z28addBiasResidualPostLayerNormI14__hip_bfloat16Li1ELi64EEvPT_PKS1_S4_S4_S4_fi.has_dyn_sized_stack, 0
	.set _Z28addBiasResidualPostLayerNormI14__hip_bfloat16Li1ELi64EEvPT_PKS1_S4_S4_S4_fi.has_recursion, 0
	.set _Z28addBiasResidualPostLayerNormI14__hip_bfloat16Li1ELi64EEvPT_PKS1_S4_S4_S4_fi.has_indirect_call, 0
	.section	.AMDGPU.csdata,"",@progbits
; Kernel info:
; codeLenInByte = 1384
; TotalNumSgprs: 18
; NumVgprs: 18
; ScratchSize: 0
; MemoryBound: 0
; FloatMode: 240
; IeeeMode: 1
; LDSByteSize: 72 bytes/workgroup (compile time only)
; SGPRBlocks: 0
; VGPRBlocks: 2
; NumSGPRsForWavesPerEU: 18
; NumVGPRsForWavesPerEU: 18
; Occupancy: 16
; WaveLimiterHint : 0
; COMPUTE_PGM_RSRC2:SCRATCH_EN: 0
; COMPUTE_PGM_RSRC2:USER_SGPR: 6
; COMPUTE_PGM_RSRC2:TRAP_HANDLER: 0
; COMPUTE_PGM_RSRC2:TGID_X_EN: 1
; COMPUTE_PGM_RSRC2:TGID_Y_EN: 0
; COMPUTE_PGM_RSRC2:TGID_Z_EN: 0
; COMPUTE_PGM_RSRC2:TIDIG_COMP_CNT: 0
	.section	.text._Z28addBiasResidualPostLayerNormI14__hip_bfloat16Li2ELi64EEvPT_PKS1_S4_S4_S4_fi,"axG",@progbits,_Z28addBiasResidualPostLayerNormI14__hip_bfloat16Li2ELi64EEvPT_PKS1_S4_S4_S4_fi,comdat
	.protected	_Z28addBiasResidualPostLayerNormI14__hip_bfloat16Li2ELi64EEvPT_PKS1_S4_S4_S4_fi ; -- Begin function _Z28addBiasResidualPostLayerNormI14__hip_bfloat16Li2ELi64EEvPT_PKS1_S4_S4_S4_fi
	.globl	_Z28addBiasResidualPostLayerNormI14__hip_bfloat16Li2ELi64EEvPT_PKS1_S4_S4_S4_fi
	.p2align	8
	.type	_Z28addBiasResidualPostLayerNormI14__hip_bfloat16Li2ELi64EEvPT_PKS1_S4_S4_S4_fi,@function
_Z28addBiasResidualPostLayerNormI14__hip_bfloat16Li2ELi64EEvPT_PKS1_S4_S4_S4_fi: ; @_Z28addBiasResidualPostLayerNormI14__hip_bfloat16Li2ELi64EEvPT_PKS1_S4_S4_S4_fi
; %bb.0:
	s_clause 0x1
	s_load_dwordx2 s[14:15], s[4:5], 0x28
	s_load_dwordx2 s[12:13], s[4:5], 0x0
	v_mov_b32_e32 v6, 0
	v_mov_b32_e32 v3, 0
	v_lshlrev_b32_e32 v7, 1, v0
	v_mov_b32_e32 v2, v6
	s_waitcnt lgkmcnt(0)
	s_mul_i32 s6, s15, s6
	v_cmp_gt_i32_e64 s0, s15, v0
	v_add_nc_u32_e32 v1, s6, v0
	s_and_saveexec_b32 s1, s0
	s_cbranch_execz .LBB19_4
; %bb.1:
	s_clause 0x1
	s_load_dwordx4 s[8:11], s[4:5], 0x8
	s_load_dword s2, s[4:5], 0x3c
	v_mov_b32_e32 v2, 0
	v_lshlrev_b64 v[3:4], 1, v[1:2]
	v_mov_b32_e32 v8, v2
	v_mov_b32_e32 v9, v2
	v_add_co_u32 v5, vcc_lo, s12, v3
	v_add_co_ci_u32_e64 v6, null, s13, v4, vcc_lo
	s_waitcnt lgkmcnt(0)
	v_add_co_u32 v3, vcc_lo, s8, v3
	v_add_co_ci_u32_e64 v4, null, s9, v4, vcc_lo
	s_and_b32 s3, s2, 0xffff
	s_mov_b32 s2, exec_lo
	global_load_short_d16_hi v8, v[5:6], off
	global_load_short_d16_hi v9, v[3:4], off
	v_mov_b32_e32 v3, v2
	global_load_short_d16_hi v3, v7, s[10:11]
	s_waitcnt vmcnt(1)
	v_add_f32_e32 v4, v8, v9
	v_bfe_u32 v5, v4, 16, 1
	v_or_b32_e32 v6, 0x400000, v4
	v_cmp_u_f32_e32 vcc_lo, v4, v4
	v_add3_u32 v5, v5, v4, 0x7fff
	v_cndmask_b32_e32 v4, v5, v6, vcc_lo
	v_and_b32_e32 v4, 0xffff0000, v4
	s_waitcnt vmcnt(0)
	v_add_f32_e32 v3, v4, v3
	v_bfe_u32 v4, v3, 16, 1
	v_or_b32_e32 v5, 0x400000, v3
	v_cmp_u_f32_e32 vcc_lo, v3, v3
	v_add3_u32 v4, v4, v3, 0x7fff
	v_cndmask_b32_e32 v3, v4, v5, vcc_lo
	v_add_nc_u32_e32 v4, s3, v0
	v_and_b32_e32 v3, 0xffff0000, v3
	v_add_f32_e32 v6, 0, v3
	v_cmpx_gt_u32_e64 s15, v4
	s_cbranch_execz .LBB19_3
; %bb.2:
	v_add_nc_u32_e32 v4, s6, v4
	v_mov_b32_e32 v5, 0
	s_lshl_b32 s3, s3, 1
	v_lshlrev_b64 v[8:9], 1, v[4:5]
	v_mov_b32_e32 v2, v5
	v_mov_b32_e32 v4, v5
	v_add_co_u32 v10, vcc_lo, s12, v8
	v_add_co_ci_u32_e64 v11, null, s13, v9, vcc_lo
	v_add_co_u32 v8, vcc_lo, s8, v8
	v_add_co_ci_u32_e64 v9, null, s9, v9, vcc_lo
	global_load_short_d16_hi v2, v[10:11], off
	global_load_short_d16_hi v4, v[8:9], off
	v_add_co_u32 v8, s7, s10, v7
	v_add_co_ci_u32_e64 v9, null, s11, 0, s7
	v_add_co_u32 v8, vcc_lo, v8, s3
	v_add_co_ci_u32_e64 v9, null, 0, v9, vcc_lo
	global_load_short_d16_hi v5, v[8:9], off
	s_waitcnt vmcnt(1)
	v_add_f32_e32 v2, v2, v4
	v_bfe_u32 v4, v2, 16, 1
	v_or_b32_e32 v8, 0x400000, v2
	v_cmp_u_f32_e32 vcc_lo, v2, v2
	v_add3_u32 v4, v4, v2, 0x7fff
	v_cndmask_b32_e32 v2, v4, v8, vcc_lo
	v_and_b32_e32 v2, 0xffff0000, v2
	s_waitcnt vmcnt(0)
	v_add_f32_e32 v2, v2, v5
	v_bfe_u32 v4, v2, 16, 1
	v_or_b32_e32 v5, 0x400000, v2
	v_cmp_u_f32_e32 vcc_lo, v2, v2
	v_add3_u32 v4, v4, v2, 0x7fff
	v_cndmask_b32_e32 v2, v4, v5, vcc_lo
	v_and_b32_e32 v2, 0xffff0000, v2
	v_add_f32_e32 v6, v6, v2
.LBB19_3:
	s_or_b32 exec_lo, exec_lo, s2
.LBB19_4:
	s_or_b32 exec_lo, exec_lo, s1
	v_mbcnt_lo_u32_b32 v10, -1, 0
	v_or_b32_e32 v4, 32, v10
	v_xor_b32_e32 v5, 16, v10
	v_xor_b32_e32 v13, 1, v10
	v_cmp_gt_i32_e32 vcc_lo, 64, v4
	v_cndmask_b32_e32 v4, v10, v4, vcc_lo
	v_cmp_gt_i32_e32 vcc_lo, 64, v5
	v_lshlrev_b32_e32 v4, 2, v4
	v_cndmask_b32_e32 v5, v10, v5, vcc_lo
	ds_bpermute_b32 v8, v4, v6
	v_lshlrev_b32_e32 v5, 2, v5
	s_waitcnt lgkmcnt(0)
	v_add_f32_e32 v8, v6, v8
	v_xor_b32_e32 v6, 8, v10
	ds_bpermute_b32 v9, v5, v8
	v_cmp_gt_i32_e32 vcc_lo, 64, v6
	v_cndmask_b32_e32 v6, v10, v6, vcc_lo
	v_lshlrev_b32_e32 v6, 2, v6
	s_waitcnt lgkmcnt(0)
	v_add_f32_e32 v9, v8, v9
	v_xor_b32_e32 v8, 4, v10
	ds_bpermute_b32 v11, v6, v9
	v_cmp_gt_i32_e32 vcc_lo, 64, v8
	v_cndmask_b32_e32 v8, v10, v8, vcc_lo
	;; [unrolled: 7-line block ×3, first 2 shown]
	v_cmp_gt_i32_e32 vcc_lo, 64, v13
	v_lshlrev_b32_e32 v9, 2, v9
	v_cndmask_b32_e32 v10, v10, v13, vcc_lo
	v_lshlrev_b32_e32 v10, 2, v10
	s_waitcnt lgkmcnt(0)
	v_add_f32_e32 v11, v11, v12
	ds_bpermute_b32 v12, v9, v11
	s_waitcnt lgkmcnt(0)
	v_add_f32_e32 v13, v11, v12
	v_and_b32_e32 v11, 63, v0
	v_lshrrev_b32_e32 v12, 4, v0
	ds_bpermute_b32 v14, v10, v13
	v_cmp_eq_u32_e64 s1, 0, v11
	s_and_saveexec_b32 s2, s1
	s_cbranch_execz .LBB19_6
; %bb.5:
	s_waitcnt lgkmcnt(0)
	v_add_f32_e32 v13, v13, v14
	ds_write_b32 v12, v13
.LBB19_6:
	s_or_b32 exec_lo, exec_lo, s2
	s_waitcnt lgkmcnt(0)
	s_barrier
	buffer_gl0_inv
	s_load_dword s7, s[4:5], 0x3c
	v_mov_b32_e32 v14, 0
	v_lshlrev_b32_e32 v13, 2, v11
	s_waitcnt lgkmcnt(0)
	s_bfe_u32 s2, s7, 0xa0006
	v_cmp_gt_u32_e64 s2, s2, v0
	s_and_saveexec_b32 s3, s2
; %bb.7:
	ds_read_b32 v14, v13
; %bb.8:
	s_or_b32 exec_lo, exec_lo, s3
	s_waitcnt lgkmcnt(0)
	ds_bpermute_b32 v11, v4, v14
	v_cmp_eq_u32_e64 s3, 0, v0
	s_waitcnt lgkmcnt(0)
	v_add_f32_e32 v11, v14, v11
	ds_bpermute_b32 v14, v5, v11
	s_waitcnt lgkmcnt(0)
	v_add_f32_e32 v11, v11, v14
	ds_bpermute_b32 v14, v6, v11
	;; [unrolled: 3-line block ×4, first 2 shown]
	s_waitcnt lgkmcnt(0)
	v_add_f32_e32 v14, v11, v14
	v_cvt_f32_i32_e32 v11, s15
	ds_bpermute_b32 v15, v10, v14
	s_and_saveexec_b32 s8, s3
	s_cbranch_execz .LBB19_10
; %bb.9:
	s_waitcnt lgkmcnt(0)
	v_add_f32_e32 v14, v14, v15
	v_div_scale_f32 v15, null, v11, v11, v14
	v_div_scale_f32 v18, vcc_lo, v14, v11, v14
	v_rcp_f32_e32 v16, v15
	v_fma_f32 v17, -v15, v16, 1.0
	v_fmac_f32_e32 v16, v17, v16
	v_mul_f32_e32 v17, v18, v16
	v_fma_f32 v19, -v15, v17, v18
	v_fmac_f32_e32 v17, v19, v16
	v_fma_f32 v15, -v15, v17, v18
	v_div_fmas_f32 v15, v15, v16, v17
	v_div_fixup_f32 v14, v15, v11, v14
	v_mov_b32_e32 v15, 0
	ds_write_b32 v15, v14 offset:68
.LBB19_10:
	s_or_b32 exec_lo, exec_lo, s8
	s_and_b32 s7, 0xffff, s7
	v_mov_b32_e32 v14, 0
	v_add_nc_u32_e32 v0, s7, v0
	s_waitcnt lgkmcnt(0)
	s_barrier
	buffer_gl0_inv
	s_and_saveexec_b32 s8, s0
	s_cbranch_execz .LBB19_12
; %bb.11:
	v_mov_b32_e32 v14, 0
	v_cmp_gt_u32_e32 vcc_lo, s15, v0
	ds_read_b32 v14, v14 offset:68
	s_waitcnt lgkmcnt(0)
	v_sub_f32_e32 v15, v3, v14
	v_sub_f32_e32 v14, v2, v14
	v_mul_f32_e32 v15, v15, v15
	v_fma_f32 v14, v14, v14, v15
	v_cndmask_b32_e32 v14, v15, v14, vcc_lo
.LBB19_12:
	s_or_b32 exec_lo, exec_lo, s8
	ds_bpermute_b32 v15, v4, v14
	s_waitcnt lgkmcnt(0)
	v_add_f32_e32 v14, v14, v15
	ds_bpermute_b32 v15, v5, v14
	s_waitcnt lgkmcnt(0)
	v_add_f32_e32 v14, v14, v15
	ds_bpermute_b32 v15, v6, v14
	s_waitcnt lgkmcnt(0)
	v_add_f32_e32 v14, v14, v15
	ds_bpermute_b32 v15, v8, v14
	s_waitcnt lgkmcnt(0)
	v_add_f32_e32 v14, v14, v15
	ds_bpermute_b32 v15, v9, v14
	s_waitcnt lgkmcnt(0)
	v_add_f32_e32 v14, v14, v15
	ds_bpermute_b32 v15, v10, v14
	s_and_saveexec_b32 s8, s1
	s_cbranch_execz .LBB19_14
; %bb.13:
	s_waitcnt lgkmcnt(0)
	v_add_f32_e32 v14, v14, v15
	ds_write_b32 v12, v14
.LBB19_14:
	s_or_b32 exec_lo, exec_lo, s8
	v_mov_b32_e32 v12, 0
	s_waitcnt lgkmcnt(0)
	s_barrier
	buffer_gl0_inv
	s_and_saveexec_b32 s1, s2
; %bb.15:
	ds_read_b32 v12, v13
; %bb.16:
	s_or_b32 exec_lo, exec_lo, s1
	s_waitcnt lgkmcnt(0)
	ds_bpermute_b32 v4, v4, v12
	s_waitcnt lgkmcnt(0)
	v_add_f32_e32 v4, v12, v4
	ds_bpermute_b32 v5, v5, v4
	s_waitcnt lgkmcnt(0)
	v_add_f32_e32 v4, v4, v5
	;; [unrolled: 3-line block ×5, first 2 shown]
	ds_bpermute_b32 v5, v10, v4
	s_and_saveexec_b32 s1, s3
	s_cbranch_execz .LBB19_18
; %bb.17:
	s_waitcnt lgkmcnt(0)
	v_add_f32_e32 v4, v4, v5
	v_div_scale_f32 v5, null, v11, v11, v4
	v_div_scale_f32 v9, vcc_lo, v4, v11, v4
	v_rcp_f32_e32 v6, v5
	v_fma_f32 v8, -v5, v6, 1.0
	v_fmac_f32_e32 v6, v8, v6
	v_mul_f32_e32 v8, v9, v6
	v_fma_f32 v10, -v5, v8, v9
	v_fmac_f32_e32 v8, v10, v6
	v_fma_f32 v5, -v5, v8, v9
	v_div_fmas_f32 v5, v5, v6, v8
	v_div_fixup_f32 v4, v5, v11, v4
	v_mov_b32_e32 v5, 0
	v_add_f32_e32 v4, s14, v4
	ds_write_b32 v5, v4 offset:64
.LBB19_18:
	s_or_b32 exec_lo, exec_lo, s1
	s_waitcnt lgkmcnt(0)
	s_barrier
	buffer_gl0_inv
	s_and_saveexec_b32 s1, s0
	s_cbranch_execz .LBB19_21
; %bb.19:
	s_load_dwordx4 s[0:3], s[4:5], 0x18
	v_mov_b32_e32 v4, 0
	s_waitcnt lgkmcnt(0)
	s_clause 0x1
	global_load_ushort v8, v7, s[0:1]
	global_load_ushort v9, v7, s[2:3]
	ds_read_b64 v[5:6], v4 offset:64
	s_waitcnt lgkmcnt(0)
	v_mul_f32_e32 v10, 0x4b800000, v5
	v_cmp_gt_f32_e32 vcc_lo, 0x800000, v5
	v_sub_f32_e32 v3, v3, v6
	v_cndmask_b32_e32 v5, v5, v10, vcc_lo
	v_rsq_f32_e32 v5, v5
	v_mul_f32_e32 v10, 0x45800000, v5
	v_cndmask_b32_e32 v5, v5, v10, vcc_lo
	v_mul_f32_e32 v3, v3, v5
	s_waitcnt vmcnt(1)
	v_lshlrev_b32_e32 v8, 16, v8
	s_waitcnt vmcnt(0)
	v_lshlrev_b32_e32 v10, 16, v9
	v_fmac_f32_e32 v10, v3, v8
	v_mov_b32_e32 v3, v1
	v_bfe_u32 v8, v10, 16, 1
	v_or_b32_e32 v1, 0x400000, v10
	v_cmp_u_f32_e32 vcc_lo, v10, v10
	v_add3_u32 v11, v8, v10, 0x7fff
	v_lshlrev_b64 v[8:9], 1, v[3:4]
	v_cndmask_b32_e32 v1, v11, v1, vcc_lo
	v_add_co_u32 v8, vcc_lo, s12, v8
	v_add_co_ci_u32_e64 v9, null, s13, v9, vcc_lo
	v_cmp_gt_u32_e32 vcc_lo, s15, v0
	global_store_short_d16_hi v[8:9], v1, off
	s_and_b32 exec_lo, exec_lo, vcc_lo
	s_cbranch_execz .LBB19_21
; %bb.20:
	v_add_co_u32 v1, s0, s0, v7
	v_add_co_ci_u32_e64 v3, null, s1, 0, s0
	v_add_co_u32 v9, s0, s2, v7
	v_add_co_ci_u32_e64 v10, null, s3, 0, s0
	s_lshl_b32 s0, s7, 1
	v_sub_f32_e32 v2, v2, v6
	v_add_co_u32 v7, vcc_lo, v1, s0
	v_add_co_ci_u32_e64 v8, null, 0, v3, vcc_lo
	v_add_co_u32 v9, vcc_lo, v9, s0
	v_add_co_ci_u32_e64 v10, null, 0, v10, vcc_lo
	global_load_ushort v1, v[7:8], off
	global_load_ushort v3, v[9:10], off
	v_mul_f32_e32 v2, v2, v5
	s_waitcnt vmcnt(1)
	v_lshlrev_b32_e32 v1, 16, v1
	s_waitcnt vmcnt(0)
	v_lshlrev_b32_e32 v5, 16, v3
	v_add_nc_u32_e32 v3, s6, v0
	v_fmac_f32_e32 v5, v2, v1
	v_bfe_u32 v1, v5, 16, 1
	v_or_b32_e32 v2, 0x400000, v5
	v_cmp_u_f32_e32 vcc_lo, v5, v5
	v_add3_u32 v6, v1, v5, 0x7fff
	v_lshlrev_b64 v[0:1], 1, v[3:4]
	v_cndmask_b32_e32 v2, v6, v2, vcc_lo
	v_add_co_u32 v0, vcc_lo, s12, v0
	v_add_co_ci_u32_e64 v1, null, s13, v1, vcc_lo
	global_store_short_d16_hi v[0:1], v2, off
.LBB19_21:
	s_endpgm
	.section	.rodata,"a",@progbits
	.p2align	6, 0x0
	.amdhsa_kernel _Z28addBiasResidualPostLayerNormI14__hip_bfloat16Li2ELi64EEvPT_PKS1_S4_S4_S4_fi
		.amdhsa_group_segment_fixed_size 72
		.amdhsa_private_segment_fixed_size 0
		.amdhsa_kernarg_size 304
		.amdhsa_user_sgpr_count 6
		.amdhsa_user_sgpr_private_segment_buffer 1
		.amdhsa_user_sgpr_dispatch_ptr 0
		.amdhsa_user_sgpr_queue_ptr 0
		.amdhsa_user_sgpr_kernarg_segment_ptr 1
		.amdhsa_user_sgpr_dispatch_id 0
		.amdhsa_user_sgpr_flat_scratch_init 0
		.amdhsa_user_sgpr_private_segment_size 0
		.amdhsa_wavefront_size32 1
		.amdhsa_uses_dynamic_stack 0
		.amdhsa_system_sgpr_private_segment_wavefront_offset 0
		.amdhsa_system_sgpr_workgroup_id_x 1
		.amdhsa_system_sgpr_workgroup_id_y 0
		.amdhsa_system_sgpr_workgroup_id_z 0
		.amdhsa_system_sgpr_workgroup_info 0
		.amdhsa_system_vgpr_workitem_id 0
		.amdhsa_next_free_vgpr 20
		.amdhsa_next_free_sgpr 16
		.amdhsa_reserve_vcc 1
		.amdhsa_reserve_flat_scratch 0
		.amdhsa_float_round_mode_32 0
		.amdhsa_float_round_mode_16_64 0
		.amdhsa_float_denorm_mode_32 3
		.amdhsa_float_denorm_mode_16_64 3
		.amdhsa_dx10_clamp 1
		.amdhsa_ieee_mode 1
		.amdhsa_fp16_overflow 0
		.amdhsa_workgroup_processor_mode 1
		.amdhsa_memory_ordered 1
		.amdhsa_forward_progress 1
		.amdhsa_shared_vgpr_count 0
		.amdhsa_exception_fp_ieee_invalid_op 0
		.amdhsa_exception_fp_denorm_src 0
		.amdhsa_exception_fp_ieee_div_zero 0
		.amdhsa_exception_fp_ieee_overflow 0
		.amdhsa_exception_fp_ieee_underflow 0
		.amdhsa_exception_fp_ieee_inexact 0
		.amdhsa_exception_int_div_zero 0
	.end_amdhsa_kernel
	.section	.text._Z28addBiasResidualPostLayerNormI14__hip_bfloat16Li2ELi64EEvPT_PKS1_S4_S4_S4_fi,"axG",@progbits,_Z28addBiasResidualPostLayerNormI14__hip_bfloat16Li2ELi64EEvPT_PKS1_S4_S4_S4_fi,comdat
.Lfunc_end19:
	.size	_Z28addBiasResidualPostLayerNormI14__hip_bfloat16Li2ELi64EEvPT_PKS1_S4_S4_S4_fi, .Lfunc_end19-_Z28addBiasResidualPostLayerNormI14__hip_bfloat16Li2ELi64EEvPT_PKS1_S4_S4_S4_fi
                                        ; -- End function
	.set _Z28addBiasResidualPostLayerNormI14__hip_bfloat16Li2ELi64EEvPT_PKS1_S4_S4_S4_fi.num_vgpr, 20
	.set _Z28addBiasResidualPostLayerNormI14__hip_bfloat16Li2ELi64EEvPT_PKS1_S4_S4_S4_fi.num_agpr, 0
	.set _Z28addBiasResidualPostLayerNormI14__hip_bfloat16Li2ELi64EEvPT_PKS1_S4_S4_S4_fi.numbered_sgpr, 16
	.set _Z28addBiasResidualPostLayerNormI14__hip_bfloat16Li2ELi64EEvPT_PKS1_S4_S4_S4_fi.num_named_barrier, 0
	.set _Z28addBiasResidualPostLayerNormI14__hip_bfloat16Li2ELi64EEvPT_PKS1_S4_S4_S4_fi.private_seg_size, 0
	.set _Z28addBiasResidualPostLayerNormI14__hip_bfloat16Li2ELi64EEvPT_PKS1_S4_S4_S4_fi.uses_vcc, 1
	.set _Z28addBiasResidualPostLayerNormI14__hip_bfloat16Li2ELi64EEvPT_PKS1_S4_S4_S4_fi.uses_flat_scratch, 0
	.set _Z28addBiasResidualPostLayerNormI14__hip_bfloat16Li2ELi64EEvPT_PKS1_S4_S4_S4_fi.has_dyn_sized_stack, 0
	.set _Z28addBiasResidualPostLayerNormI14__hip_bfloat16Li2ELi64EEvPT_PKS1_S4_S4_S4_fi.has_recursion, 0
	.set _Z28addBiasResidualPostLayerNormI14__hip_bfloat16Li2ELi64EEvPT_PKS1_S4_S4_S4_fi.has_indirect_call, 0
	.section	.AMDGPU.csdata,"",@progbits
; Kernel info:
; codeLenInByte = 1896
; TotalNumSgprs: 18
; NumVgprs: 20
; ScratchSize: 0
; MemoryBound: 0
; FloatMode: 240
; IeeeMode: 1
; LDSByteSize: 72 bytes/workgroup (compile time only)
; SGPRBlocks: 0
; VGPRBlocks: 2
; NumSGPRsForWavesPerEU: 18
; NumVGPRsForWavesPerEU: 20
; Occupancy: 16
; WaveLimiterHint : 0
; COMPUTE_PGM_RSRC2:SCRATCH_EN: 0
; COMPUTE_PGM_RSRC2:USER_SGPR: 6
; COMPUTE_PGM_RSRC2:TRAP_HANDLER: 0
; COMPUTE_PGM_RSRC2:TGID_X_EN: 1
; COMPUTE_PGM_RSRC2:TGID_Y_EN: 0
; COMPUTE_PGM_RSRC2:TGID_Z_EN: 0
; COMPUTE_PGM_RSRC2:TIDIG_COMP_CNT: 0
	.section	.text._Z35generalAddBiasResidualPostLayerNormI14__hip_bfloat16Li64EEvPT_PKS1_S4_S4_S4_fi,"axG",@progbits,_Z35generalAddBiasResidualPostLayerNormI14__hip_bfloat16Li64EEvPT_PKS1_S4_S4_S4_fi,comdat
	.protected	_Z35generalAddBiasResidualPostLayerNormI14__hip_bfloat16Li64EEvPT_PKS1_S4_S4_S4_fi ; -- Begin function _Z35generalAddBiasResidualPostLayerNormI14__hip_bfloat16Li64EEvPT_PKS1_S4_S4_S4_fi
	.globl	_Z35generalAddBiasResidualPostLayerNormI14__hip_bfloat16Li64EEvPT_PKS1_S4_S4_S4_fi
	.p2align	8
	.type	_Z35generalAddBiasResidualPostLayerNormI14__hip_bfloat16Li64EEvPT_PKS1_S4_S4_S4_fi,@function
_Z35generalAddBiasResidualPostLayerNormI14__hip_bfloat16Li64EEvPT_PKS1_S4_S4_S4_fi: ; @_Z35generalAddBiasResidualPostLayerNormI14__hip_bfloat16Li64EEvPT_PKS1_S4_S4_S4_fi
; %bb.0:
	s_clause 0x2
	s_load_dwordx2 s[18:19], s[4:5], 0x28
	s_load_dwordx2 s[16:17], s[4:5], 0x0
	s_load_dwordx4 s[8:11], s[4:5], 0x18
	v_mov_b32_e32 v4, 0
	v_lshlrev_b32_e32 v3, 2, v0
	s_waitcnt lgkmcnt(0)
	s_lshr_b32 s0, s19, 31
	s_mul_i32 s6, s19, s6
	s_add_i32 s0, s19, s0
	s_ashr_i32 s7, s0, 1
	v_cmp_gt_i32_e64 s0, s7, v0
	s_and_saveexec_b32 s2, s0
	s_cbranch_execz .LBB20_4
; %bb.1:
	s_clause 0x1
	s_load_dwordx4 s[12:15], s[4:5], 0x8
	s_load_dword s1, s[4:5], 0x3c
	v_mov_b32_e32 v4, 0
	v_mov_b32_e32 v5, v0
	s_lshr_b32 s3, s6, 1
	s_waitcnt lgkmcnt(0)
	v_add_co_u32 v1, s14, s14, v3
	v_add_co_ci_u32_e64 v2, null, s15, 0, s14
	s_and_b32 s15, s1, 0xffff
	s_mov_b32 s14, 0
	s_lshl_b32 s20, s15, 2
.LBB20_2:                               ; =>This Inner Loop Header: Depth=1
	v_add_nc_u32_e32 v6, s3, v5
	v_add_nc_u32_e32 v5, s15, v5
	v_ashrrev_i32_e32 v7, 31, v6
	v_cmp_le_i32_e64 s1, s7, v5
	v_lshlrev_b64 v[6:7], 2, v[6:7]
	s_or_b32 s14, s1, s14
	v_add_co_u32 v8, vcc_lo, s12, v6
	v_add_co_ci_u32_e64 v9, null, s13, v7, vcc_lo
	v_add_co_u32 v6, vcc_lo, s16, v6
	v_add_co_ci_u32_e64 v7, null, s17, v7, vcc_lo
	global_load_dword v8, v[8:9], off
	global_load_dword v9, v[6:7], off
	;; [unrolled: 1-line block ×3, first 2 shown]
	s_waitcnt vmcnt(2)
	v_lshlrev_b32_e32 v11, 16, v8
	s_waitcnt vmcnt(1)
	v_lshlrev_b32_e32 v12, 16, v9
	v_and_b32_e32 v8, 0xffff0000, v8
	v_and_b32_e32 v9, 0xffff0000, v9
	v_add_f32_e32 v11, v12, v11
	v_add_f32_e32 v8, v9, v8
	v_bfe_u32 v9, v11, 16, 1
	v_or_b32_e32 v13, 0x400000, v11
	v_bfe_u32 v12, v8, 16, 1
	v_cmp_u_f32_e32 vcc_lo, v11, v11
	v_or_b32_e32 v14, 0x400000, v8
	v_add3_u32 v9, v9, v11, 0x7fff
	s_waitcnt vmcnt(0)
	v_lshlrev_b32_e32 v11, 16, v10
	v_add3_u32 v12, v12, v8, 0x7fff
	v_and_b32_e32 v10, 0xffff0000, v10
	v_cndmask_b32_e32 v9, v9, v13, vcc_lo
	v_cmp_u_f32_e32 vcc_lo, v8, v8
	v_and_b32_e32 v9, 0xffff0000, v9
	v_cndmask_b32_e32 v8, v12, v14, vcc_lo
	v_add_f32_e32 v9, v9, v11
	v_and_b32_e32 v8, 0xffff0000, v8
	v_or_b32_e32 v12, 0x400000, v9
	v_add_f32_e32 v8, v8, v10
	v_bfe_u32 v10, v9, 16, 1
	v_cmp_u_f32_e32 vcc_lo, v9, v9
	v_bfe_u32 v11, v8, 16, 1
	v_add3_u32 v10, v10, v9, 0x7fff
	v_or_b32_e32 v13, 0x400000, v8
	v_add3_u32 v11, v11, v8, 0x7fff
	v_cndmask_b32_e32 v9, v10, v12, vcc_lo
	v_cmp_u_f32_e32 vcc_lo, v8, v8
	v_and_b32_e32 v10, 0xffff0000, v9
	v_cndmask_b32_e32 v8, v11, v13, vcc_lo
	v_add_co_u32 v1, vcc_lo, v1, s20
	v_add_co_ci_u32_e64 v2, null, 0, v2, vcc_lo
	v_and_b32_e32 v11, 0xffff0000, v8
	v_add_f32_e32 v4, v4, v10
	v_perm_b32 v8, v8, v9, 0x7060302
	v_add_f32_e32 v4, v4, v11
	global_store_dword v[6:7], v8, off
	s_andn2_b32 exec_lo, exec_lo, s14
	s_cbranch_execnz .LBB20_2
; %bb.3:
	s_or_b32 exec_lo, exec_lo, s14
.LBB20_4:
	s_or_b32 exec_lo, exec_lo, s2
	v_mbcnt_lo_u32_b32 v7, -1, 0
	v_or_b32_e32 v1, 32, v7
	v_xor_b32_e32 v2, 16, v7
	v_xor_b32_e32 v10, 1, v7
	v_cmp_gt_i32_e32 vcc_lo, 64, v1
	v_cndmask_b32_e32 v1, v7, v1, vcc_lo
	v_cmp_gt_i32_e32 vcc_lo, 64, v2
	v_lshlrev_b32_e32 v1, 2, v1
	v_cndmask_b32_e32 v2, v7, v2, vcc_lo
	ds_bpermute_b32 v5, v1, v4
	v_lshlrev_b32_e32 v2, 2, v2
	s_waitcnt lgkmcnt(0)
	v_add_f32_e32 v5, v4, v5
	v_xor_b32_e32 v4, 8, v7
	ds_bpermute_b32 v6, v2, v5
	v_cmp_gt_i32_e32 vcc_lo, 64, v4
	v_cndmask_b32_e32 v4, v7, v4, vcc_lo
	v_lshlrev_b32_e32 v4, 2, v4
	s_waitcnt lgkmcnt(0)
	v_add_f32_e32 v6, v5, v6
	v_xor_b32_e32 v5, 4, v7
	ds_bpermute_b32 v8, v4, v6
	v_cmp_gt_i32_e32 vcc_lo, 64, v5
	v_cndmask_b32_e32 v5, v7, v5, vcc_lo
	;; [unrolled: 7-line block ×3, first 2 shown]
	v_cmp_gt_i32_e32 vcc_lo, 64, v10
	v_lshlrev_b32_e32 v6, 2, v6
	v_cndmask_b32_e32 v7, v7, v10, vcc_lo
	v_lshlrev_b32_e32 v7, 2, v7
	s_waitcnt lgkmcnt(0)
	v_add_f32_e32 v8, v8, v9
	ds_bpermute_b32 v9, v6, v8
	s_waitcnt lgkmcnt(0)
	v_add_f32_e32 v10, v8, v9
	v_and_b32_e32 v8, 63, v0
	v_lshrrev_b32_e32 v9, 4, v0
	ds_bpermute_b32 v11, v7, v10
	v_cmp_eq_u32_e64 s1, 0, v8
	s_and_saveexec_b32 s2, s1
	s_cbranch_execz .LBB20_6
; %bb.5:
	s_waitcnt lgkmcnt(0)
	v_add_f32_e32 v10, v10, v11
	ds_write_b32 v9, v10
.LBB20_6:
	s_or_b32 exec_lo, exec_lo, s2
	s_waitcnt lgkmcnt(0)
	s_waitcnt_vscnt null, 0x0
	s_barrier
	buffer_gl0_inv
	s_load_dword s4, s[4:5], 0x3c
	v_mov_b32_e32 v11, 0
	v_lshlrev_b32_e32 v10, 2, v8
	s_waitcnt lgkmcnt(0)
	s_bfe_u32 s2, s4, 0xa0006
	v_cmp_gt_u32_e64 s2, s2, v0
	s_and_saveexec_b32 s3, s2
; %bb.7:
	ds_read_b32 v11, v10
; %bb.8:
	s_or_b32 exec_lo, exec_lo, s3
	s_waitcnt lgkmcnt(0)
	ds_bpermute_b32 v8, v1, v11
	v_cmp_eq_u32_e64 s3, 0, v0
	s_waitcnt lgkmcnt(0)
	v_add_f32_e32 v8, v11, v8
	ds_bpermute_b32 v11, v2, v8
	s_waitcnt lgkmcnt(0)
	v_add_f32_e32 v8, v8, v11
	ds_bpermute_b32 v11, v4, v8
	;; [unrolled: 3-line block ×4, first 2 shown]
	s_waitcnt lgkmcnt(0)
	v_add_f32_e32 v11, v8, v11
	v_cvt_f32_i32_e32 v8, s19
	ds_bpermute_b32 v12, v7, v11
	s_and_saveexec_b32 s5, s3
	s_cbranch_execz .LBB20_10
; %bb.9:
	s_waitcnt lgkmcnt(0)
	v_add_f32_e32 v11, v11, v12
	v_div_scale_f32 v12, null, v8, v8, v11
	v_div_scale_f32 v15, vcc_lo, v11, v8, v11
	v_rcp_f32_e32 v13, v12
	v_fma_f32 v14, -v12, v13, 1.0
	v_fmac_f32_e32 v13, v14, v13
	v_mul_f32_e32 v14, v15, v13
	v_fma_f32 v16, -v12, v14, v15
	v_fmac_f32_e32 v14, v16, v13
	v_fma_f32 v12, -v12, v14, v15
	v_div_fmas_f32 v12, v12, v13, v14
	v_div_fixup_f32 v11, v12, v8, v11
	v_mov_b32_e32 v12, 0
	ds_write_b32 v12, v11 offset:68
.LBB20_10:
	s_or_b32 exec_lo, exec_lo, s5
	v_mov_b32_e32 v11, 0
	s_and_b32 s4, 0xffff, s4
	s_waitcnt lgkmcnt(0)
	s_barrier
	buffer_gl0_inv
	s_and_saveexec_b32 s5, s0
	s_cbranch_execz .LBB20_14
; %bb.11:
	v_mov_b32_e32 v11, 0
	v_mov_b32_e32 v13, v0
	s_lshr_b32 s13, s6, 1
	s_mov_b32 s12, 0
	ds_read_b32 v12, v11 offset:68
	.p2align	6
.LBB20_12:                              ; =>This Inner Loop Header: Depth=1
	v_add_nc_u32_e32 v14, s13, v13
	v_add_nc_u32_e32 v13, s4, v13
	v_ashrrev_i32_e32 v15, 31, v14
	v_lshlrev_b64 v[14:15], 2, v[14:15]
	v_add_co_u32 v14, vcc_lo, s16, v14
	v_add_co_ci_u32_e64 v15, null, s17, v15, vcc_lo
	v_cmp_le_i32_e32 vcc_lo, s7, v13
	global_load_dword v14, v[14:15], off
	s_or_b32 s12, vcc_lo, s12
	s_waitcnt vmcnt(0)
	v_lshlrev_b32_e32 v15, 16, v14
	v_and_b32_e32 v14, 0xffff0000, v14
	s_waitcnt lgkmcnt(0)
	v_sub_f32_e32 v15, v15, v12
	v_sub_f32_e32 v14, v14, v12
	v_fmac_f32_e32 v11, v15, v15
	v_fmac_f32_e32 v11, v14, v14
	s_andn2_b32 exec_lo, exec_lo, s12
	s_cbranch_execnz .LBB20_12
; %bb.13:
	s_or_b32 exec_lo, exec_lo, s12
.LBB20_14:
	s_or_b32 exec_lo, exec_lo, s5
	ds_bpermute_b32 v12, v1, v11
	s_waitcnt lgkmcnt(0)
	v_add_f32_e32 v11, v11, v12
	ds_bpermute_b32 v12, v2, v11
	s_waitcnt lgkmcnt(0)
	v_add_f32_e32 v11, v11, v12
	;; [unrolled: 3-line block ×5, first 2 shown]
	ds_bpermute_b32 v12, v7, v11
	s_and_saveexec_b32 s5, s1
	s_cbranch_execz .LBB20_16
; %bb.15:
	s_waitcnt lgkmcnt(0)
	v_add_f32_e32 v11, v11, v12
	ds_write_b32 v9, v11
.LBB20_16:
	s_or_b32 exec_lo, exec_lo, s5
	v_mov_b32_e32 v9, 0
	s_waitcnt lgkmcnt(0)
	s_barrier
	buffer_gl0_inv
	s_and_saveexec_b32 s1, s2
; %bb.17:
	ds_read_b32 v9, v10
; %bb.18:
	s_or_b32 exec_lo, exec_lo, s1
	s_waitcnt lgkmcnt(0)
	ds_bpermute_b32 v1, v1, v9
	s_waitcnt lgkmcnt(0)
	v_add_f32_e32 v1, v9, v1
	ds_bpermute_b32 v2, v2, v1
	s_waitcnt lgkmcnt(0)
	v_add_f32_e32 v1, v1, v2
	;; [unrolled: 3-line block ×5, first 2 shown]
	ds_bpermute_b32 v2, v7, v1
	s_and_saveexec_b32 s1, s3
	s_cbranch_execz .LBB20_20
; %bb.19:
	s_waitcnt lgkmcnt(0)
	v_add_f32_e32 v1, v1, v2
	v_div_scale_f32 v2, null, v8, v8, v1
	v_div_scale_f32 v6, vcc_lo, v1, v8, v1
	v_rcp_f32_e32 v4, v2
	v_fma_f32 v5, -v2, v4, 1.0
	v_fmac_f32_e32 v4, v5, v4
	v_mul_f32_e32 v5, v6, v4
	v_fma_f32 v7, -v2, v5, v6
	v_fmac_f32_e32 v5, v7, v4
	v_fma_f32 v2, -v2, v5, v6
	v_div_fmas_f32 v2, v2, v4, v5
	v_div_fixup_f32 v1, v2, v8, v1
	v_add_f32_e32 v1, s18, v1
	v_mul_f32_e32 v2, 0x4b800000, v1
	v_cmp_gt_f32_e32 vcc_lo, 0x800000, v1
	v_cndmask_b32_e32 v1, v1, v2, vcc_lo
	v_rsq_f32_e32 v1, v1
	v_mul_f32_e32 v2, 0x45800000, v1
	v_cndmask_b32_e32 v1, v1, v2, vcc_lo
	v_mov_b32_e32 v2, 0
	ds_write_b32 v2, v1 offset:64
.LBB20_20:
	s_or_b32 exec_lo, exec_lo, s1
	s_waitcnt lgkmcnt(0)
	s_barrier
	buffer_gl0_inv
	s_and_saveexec_b32 s1, s0
	s_cbranch_execz .LBB20_23
; %bb.21:
	v_mov_b32_e32 v4, 0
	s_lshr_b32 s1, s6, 1
	s_mov_b32 s2, 0
	s_lshl_b32 s3, s4, 2
	ds_read_b64 v[1:2], v4 offset:64
.LBB20_22:                              ; =>This Inner Loop Header: Depth=1
	v_add_nc_u32_e32 v5, s1, v0
	v_add_co_u32 v7, vcc_lo, s8, v3
	v_add_co_ci_u32_e64 v8, null, s9, v4, vcc_lo
	v_ashrrev_i32_e32 v6, 31, v5
	v_add_co_u32 v9, vcc_lo, s10, v3
	v_add_co_ci_u32_e64 v10, null, s11, v4, vcc_lo
	v_lshlrev_b64 v[5:6], 2, v[5:6]
	v_add_nc_u32_e32 v0, s4, v0
	v_add_co_u32 v5, s0, s16, v5
	v_add_co_ci_u32_e64 v6, null, s17, v6, s0
	global_load_dword v11, v[5:6], off
	global_load_dword v7, v[7:8], off
	;; [unrolled: 1-line block ×3, first 2 shown]
	s_waitcnt vmcnt(2)
	v_lshlrev_b32_e32 v9, 16, v11
	v_and_b32_e32 v10, 0xffff0000, v11
	s_waitcnt vmcnt(1)
	v_lshlrev_b32_e32 v11, 16, v7
	v_and_b32_e32 v7, 0xffff0000, v7
	s_waitcnt vmcnt(0)
	v_lshlrev_b32_e32 v12, 16, v8
	s_waitcnt lgkmcnt(0)
	v_sub_f32_e32 v9, v9, v2
	v_sub_f32_e32 v10, v10, v2
	v_and_b32_e32 v8, 0xffff0000, v8
	v_mul_f32_e32 v9, v9, v1
	v_mul_f32_e32 v10, v10, v1
	v_fmac_f32_e32 v12, v9, v11
	v_fmac_f32_e32 v8, v10, v7
	v_bfe_u32 v7, v12, 16, 1
	v_bfe_u32 v9, v8, 16, 1
	v_or_b32_e32 v10, 0x400000, v12
	v_or_b32_e32 v11, 0x400000, v8
	v_cmp_u_f32_e32 vcc_lo, v8, v8
	v_add3_u32 v7, v7, v12, 0x7fff
	v_add3_u32 v9, v9, v8, 0x7fff
	v_cmp_u_f32_e64 s0, v12, v12
	v_cndmask_b32_e32 v8, v9, v11, vcc_lo
	v_cndmask_b32_e64 v7, v7, v10, s0
	v_add_co_u32 v3, vcc_lo, v3, s3
	v_cmp_le_i32_e64 s0, s7, v0
	v_add_co_ci_u32_e64 v4, null, 0, v4, vcc_lo
	v_perm_b32 v7, v8, v7, 0x7060302
	s_or_b32 s2, s0, s2
	global_store_dword v[5:6], v7, off
	s_andn2_b32 exec_lo, exec_lo, s2
	s_cbranch_execnz .LBB20_22
.LBB20_23:
	s_endpgm
	.section	.rodata,"a",@progbits
	.p2align	6, 0x0
	.amdhsa_kernel _Z35generalAddBiasResidualPostLayerNormI14__hip_bfloat16Li64EEvPT_PKS1_S4_S4_S4_fi
		.amdhsa_group_segment_fixed_size 72
		.amdhsa_private_segment_fixed_size 0
		.amdhsa_kernarg_size 304
		.amdhsa_user_sgpr_count 6
		.amdhsa_user_sgpr_private_segment_buffer 1
		.amdhsa_user_sgpr_dispatch_ptr 0
		.amdhsa_user_sgpr_queue_ptr 0
		.amdhsa_user_sgpr_kernarg_segment_ptr 1
		.amdhsa_user_sgpr_dispatch_id 0
		.amdhsa_user_sgpr_flat_scratch_init 0
		.amdhsa_user_sgpr_private_segment_size 0
		.amdhsa_wavefront_size32 1
		.amdhsa_uses_dynamic_stack 0
		.amdhsa_system_sgpr_private_segment_wavefront_offset 0
		.amdhsa_system_sgpr_workgroup_id_x 1
		.amdhsa_system_sgpr_workgroup_id_y 0
		.amdhsa_system_sgpr_workgroup_id_z 0
		.amdhsa_system_sgpr_workgroup_info 0
		.amdhsa_system_vgpr_workitem_id 0
		.amdhsa_next_free_vgpr 17
		.amdhsa_next_free_sgpr 21
		.amdhsa_reserve_vcc 1
		.amdhsa_reserve_flat_scratch 0
		.amdhsa_float_round_mode_32 0
		.amdhsa_float_round_mode_16_64 0
		.amdhsa_float_denorm_mode_32 3
		.amdhsa_float_denorm_mode_16_64 3
		.amdhsa_dx10_clamp 1
		.amdhsa_ieee_mode 1
		.amdhsa_fp16_overflow 0
		.amdhsa_workgroup_processor_mode 1
		.amdhsa_memory_ordered 1
		.amdhsa_forward_progress 1
		.amdhsa_shared_vgpr_count 0
		.amdhsa_exception_fp_ieee_invalid_op 0
		.amdhsa_exception_fp_denorm_src 0
		.amdhsa_exception_fp_ieee_div_zero 0
		.amdhsa_exception_fp_ieee_overflow 0
		.amdhsa_exception_fp_ieee_underflow 0
		.amdhsa_exception_fp_ieee_inexact 0
		.amdhsa_exception_int_div_zero 0
	.end_amdhsa_kernel
	.section	.text._Z35generalAddBiasResidualPostLayerNormI14__hip_bfloat16Li64EEvPT_PKS1_S4_S4_S4_fi,"axG",@progbits,_Z35generalAddBiasResidualPostLayerNormI14__hip_bfloat16Li64EEvPT_PKS1_S4_S4_S4_fi,comdat
.Lfunc_end20:
	.size	_Z35generalAddBiasResidualPostLayerNormI14__hip_bfloat16Li64EEvPT_PKS1_S4_S4_S4_fi, .Lfunc_end20-_Z35generalAddBiasResidualPostLayerNormI14__hip_bfloat16Li64EEvPT_PKS1_S4_S4_S4_fi
                                        ; -- End function
	.set _Z35generalAddBiasResidualPostLayerNormI14__hip_bfloat16Li64EEvPT_PKS1_S4_S4_S4_fi.num_vgpr, 17
	.set _Z35generalAddBiasResidualPostLayerNormI14__hip_bfloat16Li64EEvPT_PKS1_S4_S4_S4_fi.num_agpr, 0
	.set _Z35generalAddBiasResidualPostLayerNormI14__hip_bfloat16Li64EEvPT_PKS1_S4_S4_S4_fi.numbered_sgpr, 21
	.set _Z35generalAddBiasResidualPostLayerNormI14__hip_bfloat16Li64EEvPT_PKS1_S4_S4_S4_fi.num_named_barrier, 0
	.set _Z35generalAddBiasResidualPostLayerNormI14__hip_bfloat16Li64EEvPT_PKS1_S4_S4_S4_fi.private_seg_size, 0
	.set _Z35generalAddBiasResidualPostLayerNormI14__hip_bfloat16Li64EEvPT_PKS1_S4_S4_S4_fi.uses_vcc, 1
	.set _Z35generalAddBiasResidualPostLayerNormI14__hip_bfloat16Li64EEvPT_PKS1_S4_S4_S4_fi.uses_flat_scratch, 0
	.set _Z35generalAddBiasResidualPostLayerNormI14__hip_bfloat16Li64EEvPT_PKS1_S4_S4_S4_fi.has_dyn_sized_stack, 0
	.set _Z35generalAddBiasResidualPostLayerNormI14__hip_bfloat16Li64EEvPT_PKS1_S4_S4_S4_fi.has_recursion, 0
	.set _Z35generalAddBiasResidualPostLayerNormI14__hip_bfloat16Li64EEvPT_PKS1_S4_S4_S4_fi.has_indirect_call, 0
	.section	.AMDGPU.csdata,"",@progbits
; Kernel info:
; codeLenInByte = 2000
; TotalNumSgprs: 23
; NumVgprs: 17
; ScratchSize: 0
; MemoryBound: 0
; FloatMode: 240
; IeeeMode: 1
; LDSByteSize: 72 bytes/workgroup (compile time only)
; SGPRBlocks: 0
; VGPRBlocks: 2
; NumSGPRsForWavesPerEU: 23
; NumVGPRsForWavesPerEU: 17
; Occupancy: 16
; WaveLimiterHint : 0
; COMPUTE_PGM_RSRC2:SCRATCH_EN: 0
; COMPUTE_PGM_RSRC2:USER_SGPR: 6
; COMPUTE_PGM_RSRC2:TRAP_HANDLER: 0
; COMPUTE_PGM_RSRC2:TGID_X_EN: 1
; COMPUTE_PGM_RSRC2:TGID_Y_EN: 0
; COMPUTE_PGM_RSRC2:TGID_Z_EN: 0
; COMPUTE_PGM_RSRC2:TIDIG_COMP_CNT: 0
	.section	.text._Z28addBiasResidualPostLayerNormI14__hip_bfloat16Li1ELi32EEvPT_PKS1_S4_S4_S4_fi,"axG",@progbits,_Z28addBiasResidualPostLayerNormI14__hip_bfloat16Li1ELi32EEvPT_PKS1_S4_S4_S4_fi,comdat
	.protected	_Z28addBiasResidualPostLayerNormI14__hip_bfloat16Li1ELi32EEvPT_PKS1_S4_S4_S4_fi ; -- Begin function _Z28addBiasResidualPostLayerNormI14__hip_bfloat16Li1ELi32EEvPT_PKS1_S4_S4_S4_fi
	.globl	_Z28addBiasResidualPostLayerNormI14__hip_bfloat16Li1ELi32EEvPT_PKS1_S4_S4_S4_fi
	.p2align	8
	.type	_Z28addBiasResidualPostLayerNormI14__hip_bfloat16Li1ELi32EEvPT_PKS1_S4_S4_S4_fi,@function
_Z28addBiasResidualPostLayerNormI14__hip_bfloat16Li1ELi32EEvPT_PKS1_S4_S4_S4_fi: ; @_Z28addBiasResidualPostLayerNormI14__hip_bfloat16Li1ELi32EEvPT_PKS1_S4_S4_S4_fi
; %bb.0:
	s_clause 0x1
	s_load_dwordx2 s[10:11], s[4:5], 0x28
	s_load_dwordx2 s[8:9], s[4:5], 0x0
	v_mov_b32_e32 v5, 0
	v_lshlrev_b32_e32 v1, 1, v0
                                        ; implicit-def: $vgpr2
	s_waitcnt lgkmcnt(0)
	v_cmp_gt_i32_e64 s0, s11, v0
	s_and_saveexec_b32 s1, s0
	s_cbranch_execz .LBB21_2
; %bb.1:
	s_load_dwordx4 s[12:15], s[4:5], 0x8
	v_mad_u64_u32 v[2:3], null, s11, s6, v[0:1]
	v_mov_b32_e32 v3, 0
	v_mov_b32_e32 v8, v3
	v_lshlrev_b64 v[4:5], 1, v[2:3]
	v_mov_b32_e32 v2, v3
	v_add_co_u32 v6, vcc_lo, s8, v4
	v_add_co_ci_u32_e64 v7, null, s9, v5, vcc_lo
	s_waitcnt lgkmcnt(0)
	v_add_co_u32 v4, vcc_lo, s12, v4
	v_add_co_ci_u32_e64 v5, null, s13, v5, vcc_lo
	global_load_short_d16_hi v2, v[6:7], off
	global_load_short_d16_hi v8, v[4:5], off
	global_load_short_d16_hi v3, v1, s[14:15]
	s_waitcnt vmcnt(1)
	v_add_f32_e32 v2, v2, v8
	v_bfe_u32 v4, v2, 16, 1
	v_or_b32_e32 v5, 0x400000, v2
	v_cmp_u_f32_e32 vcc_lo, v2, v2
	v_add3_u32 v4, v4, v2, 0x7fff
	v_cndmask_b32_e32 v2, v4, v5, vcc_lo
	v_and_b32_e32 v2, 0xffff0000, v2
	s_waitcnt vmcnt(0)
	v_add_f32_e32 v2, v2, v3
	v_bfe_u32 v3, v2, 16, 1
	v_or_b32_e32 v4, 0x400000, v2
	v_cmp_u_f32_e32 vcc_lo, v2, v2
	v_add3_u32 v3, v3, v2, 0x7fff
	v_cndmask_b32_e32 v2, v3, v4, vcc_lo
	v_and_b32_e32 v2, 0xffff0000, v2
	v_add_f32_e32 v5, 0, v2
.LBB21_2:
	s_or_b32 exec_lo, exec_lo, s1
	v_mbcnt_lo_u32_b32 v7, -1, 0
	v_xor_b32_e32 v3, 16, v7
	v_xor_b32_e32 v4, 8, v7
	;; [unrolled: 1-line block ×3, first 2 shown]
	v_cmp_gt_i32_e32 vcc_lo, 32, v3
	v_cndmask_b32_e32 v3, v7, v3, vcc_lo
	v_cmp_gt_i32_e32 vcc_lo, 32, v4
	v_lshlrev_b32_e32 v3, 2, v3
	v_cndmask_b32_e32 v4, v7, v4, vcc_lo
	ds_bpermute_b32 v6, v3, v5
	v_lshlrev_b32_e32 v4, 2, v4
	s_waitcnt lgkmcnt(0)
	v_add_f32_e32 v6, v5, v6
	v_xor_b32_e32 v5, 4, v7
	ds_bpermute_b32 v8, v4, v6
	v_cmp_gt_i32_e32 vcc_lo, 32, v5
	v_cndmask_b32_e32 v5, v7, v5, vcc_lo
	v_lshlrev_b32_e32 v5, 2, v5
	s_waitcnt lgkmcnt(0)
	v_add_f32_e32 v8, v6, v8
	v_xor_b32_e32 v6, 2, v7
	ds_bpermute_b32 v9, v5, v8
	v_cmp_gt_i32_e32 vcc_lo, 32, v6
	v_cndmask_b32_e32 v6, v7, v6, vcc_lo
	v_cmp_gt_i32_e32 vcc_lo, 32, v10
	v_lshlrev_b32_e32 v6, 2, v6
	v_cndmask_b32_e32 v7, v7, v10, vcc_lo
	v_lshlrev_b32_e32 v7, 2, v7
	s_waitcnt lgkmcnt(0)
	v_add_f32_e32 v8, v8, v9
	ds_bpermute_b32 v9, v6, v8
	s_waitcnt lgkmcnt(0)
	v_add_f32_e32 v10, v8, v9
	v_and_b32_e32 v8, 31, v0
	v_lshrrev_b32_e32 v9, 3, v0
	ds_bpermute_b32 v11, v7, v10
	v_cmp_eq_u32_e64 s1, 0, v8
	s_and_saveexec_b32 s2, s1
	s_cbranch_execz .LBB21_4
; %bb.3:
	s_waitcnt lgkmcnt(0)
	v_add_f32_e32 v10, v10, v11
	ds_write_b32 v9, v10
.LBB21_4:
	s_or_b32 exec_lo, exec_lo, s2
	s_waitcnt lgkmcnt(0)
	s_barrier
	buffer_gl0_inv
	s_load_dword s2, s[4:5], 0x3c
	v_mov_b32_e32 v11, 0
	v_lshlrev_b32_e32 v10, 2, v8
	s_waitcnt lgkmcnt(0)
	s_bfe_u32 s2, s2, 0xb0005
	v_cmp_gt_u32_e64 s2, s2, v0
	s_and_saveexec_b32 s3, s2
; %bb.5:
	ds_read_b32 v11, v10
; %bb.6:
	s_or_b32 exec_lo, exec_lo, s3
	s_waitcnt lgkmcnt(0)
	ds_bpermute_b32 v8, v3, v11
	v_cmp_eq_u32_e64 s3, 0, v0
	s_waitcnt lgkmcnt(0)
	v_add_f32_e32 v8, v11, v8
	ds_bpermute_b32 v11, v4, v8
	s_waitcnt lgkmcnt(0)
	v_add_f32_e32 v8, v8, v11
	ds_bpermute_b32 v11, v5, v8
	;; [unrolled: 3-line block ×3, first 2 shown]
	s_waitcnt lgkmcnt(0)
	v_add_f32_e32 v11, v8, v11
	v_cvt_f32_i32_e32 v8, s11
	ds_bpermute_b32 v12, v7, v11
	s_and_saveexec_b32 s7, s3
	s_cbranch_execz .LBB21_8
; %bb.7:
	s_waitcnt lgkmcnt(0)
	v_add_f32_e32 v11, v11, v12
	v_div_scale_f32 v12, null, v8, v8, v11
	v_div_scale_f32 v15, vcc_lo, v11, v8, v11
	v_rcp_f32_e32 v13, v12
	v_fma_f32 v14, -v12, v13, 1.0
	v_fmac_f32_e32 v13, v14, v13
	v_mul_f32_e32 v14, v15, v13
	v_fma_f32 v16, -v12, v14, v15
	v_fmac_f32_e32 v14, v16, v13
	v_fma_f32 v12, -v12, v14, v15
	v_div_fmas_f32 v12, v12, v13, v14
	v_div_fixup_f32 v11, v12, v8, v11
	v_mov_b32_e32 v12, 0
	ds_write_b32 v12, v11 offset:132
.LBB21_8:
	s_or_b32 exec_lo, exec_lo, s7
	v_mov_b32_e32 v11, 0
	s_waitcnt lgkmcnt(0)
	s_barrier
	buffer_gl0_inv
	ds_read_b32 v12, v11 offset:132
	s_waitcnt lgkmcnt(0)
	v_sub_f32_e32 v12, v2, v12
	v_mul_f32_e32 v12, v12, v12
	v_cndmask_b32_e64 v12, 0, v12, s0
	ds_bpermute_b32 v13, v3, v12
	s_waitcnt lgkmcnt(0)
	v_add_f32_e32 v12, v12, v13
	ds_bpermute_b32 v13, v4, v12
	s_waitcnt lgkmcnt(0)
	v_add_f32_e32 v12, v12, v13
	;; [unrolled: 3-line block ×4, first 2 shown]
	ds_bpermute_b32 v13, v7, v12
	s_and_saveexec_b32 s7, s1
	s_cbranch_execz .LBB21_10
; %bb.9:
	s_waitcnt lgkmcnt(0)
	v_add_f32_e32 v12, v12, v13
	ds_write_b32 v9, v12
.LBB21_10:
	s_or_b32 exec_lo, exec_lo, s7
	s_waitcnt lgkmcnt(0)
	s_barrier
	buffer_gl0_inv
	s_and_saveexec_b32 s1, s2
; %bb.11:
	ds_read_b32 v11, v10
; %bb.12:
	s_or_b32 exec_lo, exec_lo, s1
	s_waitcnt lgkmcnt(0)
	ds_bpermute_b32 v3, v3, v11
	s_waitcnt lgkmcnt(0)
	v_add_f32_e32 v3, v11, v3
	ds_bpermute_b32 v4, v4, v3
	s_waitcnt lgkmcnt(0)
	v_add_f32_e32 v3, v3, v4
	;; [unrolled: 3-line block ×4, first 2 shown]
	ds_bpermute_b32 v4, v7, v3
	s_and_saveexec_b32 s1, s3
	s_cbranch_execz .LBB21_14
; %bb.13:
	s_waitcnt lgkmcnt(0)
	v_add_f32_e32 v3, v3, v4
	v_div_scale_f32 v4, null, v8, v8, v3
	v_div_scale_f32 v7, vcc_lo, v3, v8, v3
	v_rcp_f32_e32 v5, v4
	v_fma_f32 v6, -v4, v5, 1.0
	v_fmac_f32_e32 v5, v6, v5
	v_mul_f32_e32 v6, v7, v5
	v_fma_f32 v9, -v4, v6, v7
	v_fmac_f32_e32 v6, v9, v5
	v_fma_f32 v4, -v4, v6, v7
	v_div_fmas_f32 v4, v4, v5, v6
	v_div_fixup_f32 v3, v4, v8, v3
	v_mov_b32_e32 v4, 0
	v_add_f32_e32 v3, s10, v3
	ds_write_b32 v4, v3 offset:128
.LBB21_14:
	s_or_b32 exec_lo, exec_lo, s1
	s_waitcnt lgkmcnt(0)
	s_barrier
	buffer_gl0_inv
	s_and_saveexec_b32 s1, s0
	s_cbranch_execz .LBB21_16
; %bb.15:
	s_load_dwordx4 s[0:3], s[4:5], 0x18
	v_mov_b32_e32 v6, 0
	s_waitcnt lgkmcnt(0)
	s_clause 0x1
	global_load_ushort v5, v1, s[0:1]
	global_load_ushort v1, v1, s[2:3]
	ds_read_b64 v[3:4], v6 offset:128
	s_waitcnt lgkmcnt(0)
	v_mul_f32_e32 v7, 0x4b800000, v3
	v_cmp_gt_f32_e32 vcc_lo, 0x800000, v3
	v_sub_f32_e32 v2, v2, v4
	v_cndmask_b32_e32 v3, v3, v7, vcc_lo
	v_rsq_f32_e32 v3, v3
	v_mul_f32_e32 v7, 0x45800000, v3
	v_cndmask_b32_e32 v3, v3, v7, vcc_lo
	v_mul_f32_e32 v2, v2, v3
	s_waitcnt vmcnt(1)
	v_lshlrev_b32_e32 v3, 16, v5
	s_waitcnt vmcnt(0)
	v_lshlrev_b32_e32 v4, 16, v1
	v_mad_u64_u32 v[0:1], null, s11, s6, v[0:1]
	v_mov_b32_e32 v1, v6
	v_fmac_f32_e32 v4, v2, v3
	v_lshlrev_b64 v[0:1], 1, v[0:1]
	v_bfe_u32 v2, v4, 16, 1
	v_or_b32_e32 v3, 0x400000, v4
	v_cmp_u_f32_e32 vcc_lo, v4, v4
	v_add3_u32 v2, v2, v4, 0x7fff
	v_cndmask_b32_e32 v2, v2, v3, vcc_lo
	v_add_co_u32 v0, vcc_lo, s8, v0
	v_add_co_ci_u32_e64 v1, null, s9, v1, vcc_lo
	global_store_short_d16_hi v[0:1], v2, off
.LBB21_16:
	s_endpgm
	.section	.rodata,"a",@progbits
	.p2align	6, 0x0
	.amdhsa_kernel _Z28addBiasResidualPostLayerNormI14__hip_bfloat16Li1ELi32EEvPT_PKS1_S4_S4_S4_fi
		.amdhsa_group_segment_fixed_size 136
		.amdhsa_private_segment_fixed_size 0
		.amdhsa_kernarg_size 304
		.amdhsa_user_sgpr_count 6
		.amdhsa_user_sgpr_private_segment_buffer 1
		.amdhsa_user_sgpr_dispatch_ptr 0
		.amdhsa_user_sgpr_queue_ptr 0
		.amdhsa_user_sgpr_kernarg_segment_ptr 1
		.amdhsa_user_sgpr_dispatch_id 0
		.amdhsa_user_sgpr_flat_scratch_init 0
		.amdhsa_user_sgpr_private_segment_size 0
		.amdhsa_wavefront_size32 1
		.amdhsa_uses_dynamic_stack 0
		.amdhsa_system_sgpr_private_segment_wavefront_offset 0
		.amdhsa_system_sgpr_workgroup_id_x 1
		.amdhsa_system_sgpr_workgroup_id_y 0
		.amdhsa_system_sgpr_workgroup_id_z 0
		.amdhsa_system_sgpr_workgroup_info 0
		.amdhsa_system_vgpr_workitem_id 0
		.amdhsa_next_free_vgpr 17
		.amdhsa_next_free_sgpr 16
		.amdhsa_reserve_vcc 1
		.amdhsa_reserve_flat_scratch 0
		.amdhsa_float_round_mode_32 0
		.amdhsa_float_round_mode_16_64 0
		.amdhsa_float_denorm_mode_32 3
		.amdhsa_float_denorm_mode_16_64 3
		.amdhsa_dx10_clamp 1
		.amdhsa_ieee_mode 1
		.amdhsa_fp16_overflow 0
		.amdhsa_workgroup_processor_mode 1
		.amdhsa_memory_ordered 1
		.amdhsa_forward_progress 1
		.amdhsa_shared_vgpr_count 0
		.amdhsa_exception_fp_ieee_invalid_op 0
		.amdhsa_exception_fp_denorm_src 0
		.amdhsa_exception_fp_ieee_div_zero 0
		.amdhsa_exception_fp_ieee_overflow 0
		.amdhsa_exception_fp_ieee_underflow 0
		.amdhsa_exception_fp_ieee_inexact 0
		.amdhsa_exception_int_div_zero 0
	.end_amdhsa_kernel
	.section	.text._Z28addBiasResidualPostLayerNormI14__hip_bfloat16Li1ELi32EEvPT_PKS1_S4_S4_S4_fi,"axG",@progbits,_Z28addBiasResidualPostLayerNormI14__hip_bfloat16Li1ELi32EEvPT_PKS1_S4_S4_S4_fi,comdat
.Lfunc_end21:
	.size	_Z28addBiasResidualPostLayerNormI14__hip_bfloat16Li1ELi32EEvPT_PKS1_S4_S4_S4_fi, .Lfunc_end21-_Z28addBiasResidualPostLayerNormI14__hip_bfloat16Li1ELi32EEvPT_PKS1_S4_S4_S4_fi
                                        ; -- End function
	.set _Z28addBiasResidualPostLayerNormI14__hip_bfloat16Li1ELi32EEvPT_PKS1_S4_S4_S4_fi.num_vgpr, 17
	.set _Z28addBiasResidualPostLayerNormI14__hip_bfloat16Li1ELi32EEvPT_PKS1_S4_S4_S4_fi.num_agpr, 0
	.set _Z28addBiasResidualPostLayerNormI14__hip_bfloat16Li1ELi32EEvPT_PKS1_S4_S4_S4_fi.numbered_sgpr, 16
	.set _Z28addBiasResidualPostLayerNormI14__hip_bfloat16Li1ELi32EEvPT_PKS1_S4_S4_S4_fi.num_named_barrier, 0
	.set _Z28addBiasResidualPostLayerNormI14__hip_bfloat16Li1ELi32EEvPT_PKS1_S4_S4_S4_fi.private_seg_size, 0
	.set _Z28addBiasResidualPostLayerNormI14__hip_bfloat16Li1ELi32EEvPT_PKS1_S4_S4_S4_fi.uses_vcc, 1
	.set _Z28addBiasResidualPostLayerNormI14__hip_bfloat16Li1ELi32EEvPT_PKS1_S4_S4_S4_fi.uses_flat_scratch, 0
	.set _Z28addBiasResidualPostLayerNormI14__hip_bfloat16Li1ELi32EEvPT_PKS1_S4_S4_S4_fi.has_dyn_sized_stack, 0
	.set _Z28addBiasResidualPostLayerNormI14__hip_bfloat16Li1ELi32EEvPT_PKS1_S4_S4_S4_fi.has_recursion, 0
	.set _Z28addBiasResidualPostLayerNormI14__hip_bfloat16Li1ELi32EEvPT_PKS1_S4_S4_S4_fi.has_indirect_call, 0
	.section	.AMDGPU.csdata,"",@progbits
; Kernel info:
; codeLenInByte = 1304
; TotalNumSgprs: 18
; NumVgprs: 17
; ScratchSize: 0
; MemoryBound: 0
; FloatMode: 240
; IeeeMode: 1
; LDSByteSize: 136 bytes/workgroup (compile time only)
; SGPRBlocks: 0
; VGPRBlocks: 2
; NumSGPRsForWavesPerEU: 18
; NumVGPRsForWavesPerEU: 17
; Occupancy: 16
; WaveLimiterHint : 0
; COMPUTE_PGM_RSRC2:SCRATCH_EN: 0
; COMPUTE_PGM_RSRC2:USER_SGPR: 6
; COMPUTE_PGM_RSRC2:TRAP_HANDLER: 0
; COMPUTE_PGM_RSRC2:TGID_X_EN: 1
; COMPUTE_PGM_RSRC2:TGID_Y_EN: 0
; COMPUTE_PGM_RSRC2:TGID_Z_EN: 0
; COMPUTE_PGM_RSRC2:TIDIG_COMP_CNT: 0
	.section	.text._Z28addBiasResidualPostLayerNormI14__hip_bfloat16Li2ELi32EEvPT_PKS1_S4_S4_S4_fi,"axG",@progbits,_Z28addBiasResidualPostLayerNormI14__hip_bfloat16Li2ELi32EEvPT_PKS1_S4_S4_S4_fi,comdat
	.protected	_Z28addBiasResidualPostLayerNormI14__hip_bfloat16Li2ELi32EEvPT_PKS1_S4_S4_S4_fi ; -- Begin function _Z28addBiasResidualPostLayerNormI14__hip_bfloat16Li2ELi32EEvPT_PKS1_S4_S4_S4_fi
	.globl	_Z28addBiasResidualPostLayerNormI14__hip_bfloat16Li2ELi32EEvPT_PKS1_S4_S4_S4_fi
	.p2align	8
	.type	_Z28addBiasResidualPostLayerNormI14__hip_bfloat16Li2ELi32EEvPT_PKS1_S4_S4_S4_fi,@function
_Z28addBiasResidualPostLayerNormI14__hip_bfloat16Li2ELi32EEvPT_PKS1_S4_S4_S4_fi: ; @_Z28addBiasResidualPostLayerNormI14__hip_bfloat16Li2ELi32EEvPT_PKS1_S4_S4_S4_fi
; %bb.0:
	s_clause 0x1
	s_load_dwordx2 s[14:15], s[4:5], 0x28
	s_load_dwordx2 s[12:13], s[4:5], 0x0
	v_mov_b32_e32 v6, 0
	v_mov_b32_e32 v3, 0
	v_lshlrev_b32_e32 v7, 1, v0
	v_mov_b32_e32 v2, v6
	s_waitcnt lgkmcnt(0)
	s_mul_i32 s6, s15, s6
	v_cmp_gt_i32_e64 s0, s15, v0
	v_add_nc_u32_e32 v1, s6, v0
	s_and_saveexec_b32 s1, s0
	s_cbranch_execz .LBB22_4
; %bb.1:
	s_clause 0x1
	s_load_dwordx4 s[8:11], s[4:5], 0x8
	s_load_dword s2, s[4:5], 0x3c
	v_mov_b32_e32 v2, 0
	v_lshlrev_b64 v[3:4], 1, v[1:2]
	v_mov_b32_e32 v8, v2
	v_mov_b32_e32 v9, v2
	v_add_co_u32 v5, vcc_lo, s12, v3
	v_add_co_ci_u32_e64 v6, null, s13, v4, vcc_lo
	s_waitcnt lgkmcnt(0)
	v_add_co_u32 v3, vcc_lo, s8, v3
	v_add_co_ci_u32_e64 v4, null, s9, v4, vcc_lo
	s_and_b32 s3, s2, 0xffff
	s_mov_b32 s2, exec_lo
	global_load_short_d16_hi v8, v[5:6], off
	global_load_short_d16_hi v9, v[3:4], off
	v_mov_b32_e32 v3, v2
	global_load_short_d16_hi v3, v7, s[10:11]
	s_waitcnt vmcnt(1)
	v_add_f32_e32 v4, v8, v9
	v_bfe_u32 v5, v4, 16, 1
	v_or_b32_e32 v6, 0x400000, v4
	v_cmp_u_f32_e32 vcc_lo, v4, v4
	v_add3_u32 v5, v5, v4, 0x7fff
	v_cndmask_b32_e32 v4, v5, v6, vcc_lo
	v_and_b32_e32 v4, 0xffff0000, v4
	s_waitcnt vmcnt(0)
	v_add_f32_e32 v3, v4, v3
	v_bfe_u32 v4, v3, 16, 1
	v_or_b32_e32 v5, 0x400000, v3
	v_cmp_u_f32_e32 vcc_lo, v3, v3
	v_add3_u32 v4, v4, v3, 0x7fff
	v_cndmask_b32_e32 v3, v4, v5, vcc_lo
	v_add_nc_u32_e32 v4, s3, v0
	v_and_b32_e32 v3, 0xffff0000, v3
	v_add_f32_e32 v6, 0, v3
	v_cmpx_gt_u32_e64 s15, v4
	s_cbranch_execz .LBB22_3
; %bb.2:
	v_add_nc_u32_e32 v4, s6, v4
	v_mov_b32_e32 v5, 0
	s_lshl_b32 s3, s3, 1
	v_lshlrev_b64 v[8:9], 1, v[4:5]
	v_mov_b32_e32 v2, v5
	v_mov_b32_e32 v4, v5
	v_add_co_u32 v10, vcc_lo, s12, v8
	v_add_co_ci_u32_e64 v11, null, s13, v9, vcc_lo
	v_add_co_u32 v8, vcc_lo, s8, v8
	v_add_co_ci_u32_e64 v9, null, s9, v9, vcc_lo
	global_load_short_d16_hi v2, v[10:11], off
	global_load_short_d16_hi v4, v[8:9], off
	v_add_co_u32 v8, s7, s10, v7
	v_add_co_ci_u32_e64 v9, null, s11, 0, s7
	v_add_co_u32 v8, vcc_lo, v8, s3
	v_add_co_ci_u32_e64 v9, null, 0, v9, vcc_lo
	global_load_short_d16_hi v5, v[8:9], off
	s_waitcnt vmcnt(1)
	v_add_f32_e32 v2, v2, v4
	v_bfe_u32 v4, v2, 16, 1
	v_or_b32_e32 v8, 0x400000, v2
	v_cmp_u_f32_e32 vcc_lo, v2, v2
	v_add3_u32 v4, v4, v2, 0x7fff
	v_cndmask_b32_e32 v2, v4, v8, vcc_lo
	v_and_b32_e32 v2, 0xffff0000, v2
	s_waitcnt vmcnt(0)
	v_add_f32_e32 v2, v2, v5
	v_bfe_u32 v4, v2, 16, 1
	v_or_b32_e32 v5, 0x400000, v2
	v_cmp_u_f32_e32 vcc_lo, v2, v2
	v_add3_u32 v4, v4, v2, 0x7fff
	v_cndmask_b32_e32 v2, v4, v5, vcc_lo
	v_and_b32_e32 v2, 0xffff0000, v2
	v_add_f32_e32 v6, v6, v2
.LBB22_3:
	s_or_b32 exec_lo, exec_lo, s2
.LBB22_4:
	s_or_b32 exec_lo, exec_lo, s1
	v_mbcnt_lo_u32_b32 v9, -1, 0
	v_xor_b32_e32 v4, 16, v9
	v_xor_b32_e32 v5, 8, v9
	;; [unrolled: 1-line block ×3, first 2 shown]
	v_cmp_gt_i32_e32 vcc_lo, 32, v4
	v_cndmask_b32_e32 v4, v9, v4, vcc_lo
	v_cmp_gt_i32_e32 vcc_lo, 32, v5
	v_lshlrev_b32_e32 v4, 2, v4
	v_cndmask_b32_e32 v5, v9, v5, vcc_lo
	ds_bpermute_b32 v8, v4, v6
	v_lshlrev_b32_e32 v5, 2, v5
	s_waitcnt lgkmcnt(0)
	v_add_f32_e32 v8, v6, v8
	v_xor_b32_e32 v6, 4, v9
	ds_bpermute_b32 v10, v5, v8
	v_cmp_gt_i32_e32 vcc_lo, 32, v6
	v_cndmask_b32_e32 v6, v9, v6, vcc_lo
	v_lshlrev_b32_e32 v6, 2, v6
	s_waitcnt lgkmcnt(0)
	v_add_f32_e32 v10, v8, v10
	v_xor_b32_e32 v8, 2, v9
	ds_bpermute_b32 v11, v6, v10
	v_cmp_gt_i32_e32 vcc_lo, 32, v8
	v_cndmask_b32_e32 v8, v9, v8, vcc_lo
	v_cmp_gt_i32_e32 vcc_lo, 32, v12
	v_lshlrev_b32_e32 v8, 2, v8
	v_cndmask_b32_e32 v9, v9, v12, vcc_lo
	v_lshlrev_b32_e32 v9, 2, v9
	s_waitcnt lgkmcnt(0)
	v_add_f32_e32 v10, v10, v11
	ds_bpermute_b32 v11, v8, v10
	s_waitcnt lgkmcnt(0)
	v_add_f32_e32 v12, v10, v11
	v_and_b32_e32 v10, 31, v0
	v_lshrrev_b32_e32 v11, 3, v0
	ds_bpermute_b32 v13, v9, v12
	v_cmp_eq_u32_e64 s1, 0, v10
	s_and_saveexec_b32 s2, s1
	s_cbranch_execz .LBB22_6
; %bb.5:
	s_waitcnt lgkmcnt(0)
	v_add_f32_e32 v12, v12, v13
	ds_write_b32 v11, v12
.LBB22_6:
	s_or_b32 exec_lo, exec_lo, s2
	s_waitcnt lgkmcnt(0)
	s_barrier
	buffer_gl0_inv
	s_load_dword s7, s[4:5], 0x3c
	v_mov_b32_e32 v13, 0
	v_lshlrev_b32_e32 v12, 2, v10
	s_waitcnt lgkmcnt(0)
	s_bfe_u32 s2, s7, 0xb0005
	v_cmp_gt_u32_e64 s2, s2, v0
	s_and_saveexec_b32 s3, s2
; %bb.7:
	ds_read_b32 v13, v12
; %bb.8:
	s_or_b32 exec_lo, exec_lo, s3
	s_waitcnt lgkmcnt(0)
	ds_bpermute_b32 v10, v4, v13
	v_cmp_eq_u32_e64 s3, 0, v0
	s_waitcnt lgkmcnt(0)
	v_add_f32_e32 v10, v13, v10
	ds_bpermute_b32 v13, v5, v10
	s_waitcnt lgkmcnt(0)
	v_add_f32_e32 v10, v10, v13
	ds_bpermute_b32 v13, v6, v10
	;; [unrolled: 3-line block ×3, first 2 shown]
	s_waitcnt lgkmcnt(0)
	v_add_f32_e32 v13, v10, v13
	v_cvt_f32_i32_e32 v10, s15
	ds_bpermute_b32 v14, v9, v13
	s_and_saveexec_b32 s8, s3
	s_cbranch_execz .LBB22_10
; %bb.9:
	s_waitcnt lgkmcnt(0)
	v_add_f32_e32 v13, v13, v14
	v_div_scale_f32 v14, null, v10, v10, v13
	v_div_scale_f32 v17, vcc_lo, v13, v10, v13
	v_rcp_f32_e32 v15, v14
	v_fma_f32 v16, -v14, v15, 1.0
	v_fmac_f32_e32 v15, v16, v15
	v_mul_f32_e32 v16, v17, v15
	v_fma_f32 v18, -v14, v16, v17
	v_fmac_f32_e32 v16, v18, v15
	v_fma_f32 v14, -v14, v16, v17
	v_div_fmas_f32 v14, v14, v15, v16
	v_div_fixup_f32 v13, v14, v10, v13
	v_mov_b32_e32 v14, 0
	ds_write_b32 v14, v13 offset:132
.LBB22_10:
	s_or_b32 exec_lo, exec_lo, s8
	s_and_b32 s7, 0xffff, s7
	v_mov_b32_e32 v13, 0
	v_add_nc_u32_e32 v0, s7, v0
	s_waitcnt lgkmcnt(0)
	s_barrier
	buffer_gl0_inv
	s_and_saveexec_b32 s8, s0
	s_cbranch_execz .LBB22_12
; %bb.11:
	v_mov_b32_e32 v13, 0
	v_cmp_gt_u32_e32 vcc_lo, s15, v0
	ds_read_b32 v13, v13 offset:132
	s_waitcnt lgkmcnt(0)
	v_sub_f32_e32 v14, v3, v13
	v_sub_f32_e32 v13, v2, v13
	v_mul_f32_e32 v14, v14, v14
	v_fma_f32 v13, v13, v13, v14
	v_cndmask_b32_e32 v13, v14, v13, vcc_lo
.LBB22_12:
	s_or_b32 exec_lo, exec_lo, s8
	ds_bpermute_b32 v14, v4, v13
	s_waitcnt lgkmcnt(0)
	v_add_f32_e32 v13, v13, v14
	ds_bpermute_b32 v14, v5, v13
	s_waitcnt lgkmcnt(0)
	v_add_f32_e32 v13, v13, v14
	;; [unrolled: 3-line block ×4, first 2 shown]
	ds_bpermute_b32 v14, v9, v13
	s_and_saveexec_b32 s8, s1
	s_cbranch_execz .LBB22_14
; %bb.13:
	s_waitcnt lgkmcnt(0)
	v_add_f32_e32 v13, v13, v14
	ds_write_b32 v11, v13
.LBB22_14:
	s_or_b32 exec_lo, exec_lo, s8
	v_mov_b32_e32 v11, 0
	s_waitcnt lgkmcnt(0)
	s_barrier
	buffer_gl0_inv
	s_and_saveexec_b32 s1, s2
; %bb.15:
	ds_read_b32 v11, v12
; %bb.16:
	s_or_b32 exec_lo, exec_lo, s1
	s_waitcnt lgkmcnt(0)
	ds_bpermute_b32 v4, v4, v11
	s_waitcnt lgkmcnt(0)
	v_add_f32_e32 v4, v11, v4
	ds_bpermute_b32 v5, v5, v4
	s_waitcnt lgkmcnt(0)
	v_add_f32_e32 v4, v4, v5
	;; [unrolled: 3-line block ×4, first 2 shown]
	ds_bpermute_b32 v5, v9, v4
	s_and_saveexec_b32 s1, s3
	s_cbranch_execz .LBB22_18
; %bb.17:
	s_waitcnt lgkmcnt(0)
	v_add_f32_e32 v4, v4, v5
	v_div_scale_f32 v5, null, v10, v10, v4
	v_div_scale_f32 v9, vcc_lo, v4, v10, v4
	v_rcp_f32_e32 v6, v5
	v_fma_f32 v8, -v5, v6, 1.0
	v_fmac_f32_e32 v6, v8, v6
	v_mul_f32_e32 v8, v9, v6
	v_fma_f32 v11, -v5, v8, v9
	v_fmac_f32_e32 v8, v11, v6
	v_fma_f32 v5, -v5, v8, v9
	v_div_fmas_f32 v5, v5, v6, v8
	v_div_fixup_f32 v4, v5, v10, v4
	v_mov_b32_e32 v5, 0
	v_add_f32_e32 v4, s14, v4
	ds_write_b32 v5, v4 offset:128
.LBB22_18:
	s_or_b32 exec_lo, exec_lo, s1
	s_waitcnt lgkmcnt(0)
	s_barrier
	buffer_gl0_inv
	s_and_saveexec_b32 s1, s0
	s_cbranch_execz .LBB22_21
; %bb.19:
	s_load_dwordx4 s[0:3], s[4:5], 0x18
	v_mov_b32_e32 v4, 0
	s_waitcnt lgkmcnt(0)
	s_clause 0x1
	global_load_ushort v8, v7, s[0:1]
	global_load_ushort v9, v7, s[2:3]
	ds_read_b64 v[5:6], v4 offset:128
	s_waitcnt lgkmcnt(0)
	v_mul_f32_e32 v10, 0x4b800000, v5
	v_cmp_gt_f32_e32 vcc_lo, 0x800000, v5
	v_sub_f32_e32 v3, v3, v6
	v_cndmask_b32_e32 v5, v5, v10, vcc_lo
	v_rsq_f32_e32 v5, v5
	v_mul_f32_e32 v10, 0x45800000, v5
	v_cndmask_b32_e32 v5, v5, v10, vcc_lo
	v_mul_f32_e32 v3, v3, v5
	s_waitcnt vmcnt(1)
	v_lshlrev_b32_e32 v8, 16, v8
	s_waitcnt vmcnt(0)
	v_lshlrev_b32_e32 v10, 16, v9
	v_fmac_f32_e32 v10, v3, v8
	v_mov_b32_e32 v3, v1
	v_bfe_u32 v8, v10, 16, 1
	v_or_b32_e32 v1, 0x400000, v10
	v_cmp_u_f32_e32 vcc_lo, v10, v10
	v_add3_u32 v11, v8, v10, 0x7fff
	v_lshlrev_b64 v[8:9], 1, v[3:4]
	v_cndmask_b32_e32 v1, v11, v1, vcc_lo
	v_add_co_u32 v8, vcc_lo, s12, v8
	v_add_co_ci_u32_e64 v9, null, s13, v9, vcc_lo
	v_cmp_gt_u32_e32 vcc_lo, s15, v0
	global_store_short_d16_hi v[8:9], v1, off
	s_and_b32 exec_lo, exec_lo, vcc_lo
	s_cbranch_execz .LBB22_21
; %bb.20:
	v_add_co_u32 v1, s0, s0, v7
	v_add_co_ci_u32_e64 v3, null, s1, 0, s0
	v_add_co_u32 v9, s0, s2, v7
	v_add_co_ci_u32_e64 v10, null, s3, 0, s0
	s_lshl_b32 s0, s7, 1
	v_sub_f32_e32 v2, v2, v6
	v_add_co_u32 v7, vcc_lo, v1, s0
	v_add_co_ci_u32_e64 v8, null, 0, v3, vcc_lo
	v_add_co_u32 v9, vcc_lo, v9, s0
	v_add_co_ci_u32_e64 v10, null, 0, v10, vcc_lo
	global_load_ushort v1, v[7:8], off
	global_load_ushort v3, v[9:10], off
	v_mul_f32_e32 v2, v2, v5
	s_waitcnt vmcnt(1)
	v_lshlrev_b32_e32 v1, 16, v1
	s_waitcnt vmcnt(0)
	v_lshlrev_b32_e32 v5, 16, v3
	v_add_nc_u32_e32 v3, s6, v0
	v_fmac_f32_e32 v5, v2, v1
	v_bfe_u32 v1, v5, 16, 1
	v_or_b32_e32 v2, 0x400000, v5
	v_cmp_u_f32_e32 vcc_lo, v5, v5
	v_add3_u32 v6, v1, v5, 0x7fff
	v_lshlrev_b64 v[0:1], 1, v[3:4]
	v_cndmask_b32_e32 v2, v6, v2, vcc_lo
	v_add_co_u32 v0, vcc_lo, s12, v0
	v_add_co_ci_u32_e64 v1, null, s13, v1, vcc_lo
	global_store_short_d16_hi v[0:1], v2, off
.LBB22_21:
	s_endpgm
	.section	.rodata,"a",@progbits
	.p2align	6, 0x0
	.amdhsa_kernel _Z28addBiasResidualPostLayerNormI14__hip_bfloat16Li2ELi32EEvPT_PKS1_S4_S4_S4_fi
		.amdhsa_group_segment_fixed_size 136
		.amdhsa_private_segment_fixed_size 0
		.amdhsa_kernarg_size 304
		.amdhsa_user_sgpr_count 6
		.amdhsa_user_sgpr_private_segment_buffer 1
		.amdhsa_user_sgpr_dispatch_ptr 0
		.amdhsa_user_sgpr_queue_ptr 0
		.amdhsa_user_sgpr_kernarg_segment_ptr 1
		.amdhsa_user_sgpr_dispatch_id 0
		.amdhsa_user_sgpr_flat_scratch_init 0
		.amdhsa_user_sgpr_private_segment_size 0
		.amdhsa_wavefront_size32 1
		.amdhsa_uses_dynamic_stack 0
		.amdhsa_system_sgpr_private_segment_wavefront_offset 0
		.amdhsa_system_sgpr_workgroup_id_x 1
		.amdhsa_system_sgpr_workgroup_id_y 0
		.amdhsa_system_sgpr_workgroup_id_z 0
		.amdhsa_system_sgpr_workgroup_info 0
		.amdhsa_system_vgpr_workitem_id 0
		.amdhsa_next_free_vgpr 19
		.amdhsa_next_free_sgpr 16
		.amdhsa_reserve_vcc 1
		.amdhsa_reserve_flat_scratch 0
		.amdhsa_float_round_mode_32 0
		.amdhsa_float_round_mode_16_64 0
		.amdhsa_float_denorm_mode_32 3
		.amdhsa_float_denorm_mode_16_64 3
		.amdhsa_dx10_clamp 1
		.amdhsa_ieee_mode 1
		.amdhsa_fp16_overflow 0
		.amdhsa_workgroup_processor_mode 1
		.amdhsa_memory_ordered 1
		.amdhsa_forward_progress 1
		.amdhsa_shared_vgpr_count 0
		.amdhsa_exception_fp_ieee_invalid_op 0
		.amdhsa_exception_fp_denorm_src 0
		.amdhsa_exception_fp_ieee_div_zero 0
		.amdhsa_exception_fp_ieee_overflow 0
		.amdhsa_exception_fp_ieee_underflow 0
		.amdhsa_exception_fp_ieee_inexact 0
		.amdhsa_exception_int_div_zero 0
	.end_amdhsa_kernel
	.section	.text._Z28addBiasResidualPostLayerNormI14__hip_bfloat16Li2ELi32EEvPT_PKS1_S4_S4_S4_fi,"axG",@progbits,_Z28addBiasResidualPostLayerNormI14__hip_bfloat16Li2ELi32EEvPT_PKS1_S4_S4_S4_fi,comdat
.Lfunc_end22:
	.size	_Z28addBiasResidualPostLayerNormI14__hip_bfloat16Li2ELi32EEvPT_PKS1_S4_S4_S4_fi, .Lfunc_end22-_Z28addBiasResidualPostLayerNormI14__hip_bfloat16Li2ELi32EEvPT_PKS1_S4_S4_S4_fi
                                        ; -- End function
	.set _Z28addBiasResidualPostLayerNormI14__hip_bfloat16Li2ELi32EEvPT_PKS1_S4_S4_S4_fi.num_vgpr, 19
	.set _Z28addBiasResidualPostLayerNormI14__hip_bfloat16Li2ELi32EEvPT_PKS1_S4_S4_S4_fi.num_agpr, 0
	.set _Z28addBiasResidualPostLayerNormI14__hip_bfloat16Li2ELi32EEvPT_PKS1_S4_S4_S4_fi.numbered_sgpr, 16
	.set _Z28addBiasResidualPostLayerNormI14__hip_bfloat16Li2ELi32EEvPT_PKS1_S4_S4_S4_fi.num_named_barrier, 0
	.set _Z28addBiasResidualPostLayerNormI14__hip_bfloat16Li2ELi32EEvPT_PKS1_S4_S4_S4_fi.private_seg_size, 0
	.set _Z28addBiasResidualPostLayerNormI14__hip_bfloat16Li2ELi32EEvPT_PKS1_S4_S4_S4_fi.uses_vcc, 1
	.set _Z28addBiasResidualPostLayerNormI14__hip_bfloat16Li2ELi32EEvPT_PKS1_S4_S4_S4_fi.uses_flat_scratch, 0
	.set _Z28addBiasResidualPostLayerNormI14__hip_bfloat16Li2ELi32EEvPT_PKS1_S4_S4_S4_fi.has_dyn_sized_stack, 0
	.set _Z28addBiasResidualPostLayerNormI14__hip_bfloat16Li2ELi32EEvPT_PKS1_S4_S4_S4_fi.has_recursion, 0
	.set _Z28addBiasResidualPostLayerNormI14__hip_bfloat16Li2ELi32EEvPT_PKS1_S4_S4_S4_fi.has_indirect_call, 0
	.section	.AMDGPU.csdata,"",@progbits
; Kernel info:
; codeLenInByte = 1816
; TotalNumSgprs: 18
; NumVgprs: 19
; ScratchSize: 0
; MemoryBound: 0
; FloatMode: 240
; IeeeMode: 1
; LDSByteSize: 136 bytes/workgroup (compile time only)
; SGPRBlocks: 0
; VGPRBlocks: 2
; NumSGPRsForWavesPerEU: 18
; NumVGPRsForWavesPerEU: 19
; Occupancy: 16
; WaveLimiterHint : 0
; COMPUTE_PGM_RSRC2:SCRATCH_EN: 0
; COMPUTE_PGM_RSRC2:USER_SGPR: 6
; COMPUTE_PGM_RSRC2:TRAP_HANDLER: 0
; COMPUTE_PGM_RSRC2:TGID_X_EN: 1
; COMPUTE_PGM_RSRC2:TGID_Y_EN: 0
; COMPUTE_PGM_RSRC2:TGID_Z_EN: 0
; COMPUTE_PGM_RSRC2:TIDIG_COMP_CNT: 0
	.section	.text._Z35generalAddBiasResidualPostLayerNormI14__hip_bfloat16Li32EEvPT_PKS1_S4_S4_S4_fi,"axG",@progbits,_Z35generalAddBiasResidualPostLayerNormI14__hip_bfloat16Li32EEvPT_PKS1_S4_S4_S4_fi,comdat
	.protected	_Z35generalAddBiasResidualPostLayerNormI14__hip_bfloat16Li32EEvPT_PKS1_S4_S4_S4_fi ; -- Begin function _Z35generalAddBiasResidualPostLayerNormI14__hip_bfloat16Li32EEvPT_PKS1_S4_S4_S4_fi
	.globl	_Z35generalAddBiasResidualPostLayerNormI14__hip_bfloat16Li32EEvPT_PKS1_S4_S4_S4_fi
	.p2align	8
	.type	_Z35generalAddBiasResidualPostLayerNormI14__hip_bfloat16Li32EEvPT_PKS1_S4_S4_S4_fi,@function
_Z35generalAddBiasResidualPostLayerNormI14__hip_bfloat16Li32EEvPT_PKS1_S4_S4_S4_fi: ; @_Z35generalAddBiasResidualPostLayerNormI14__hip_bfloat16Li32EEvPT_PKS1_S4_S4_S4_fi
; %bb.0:
	s_clause 0x2
	s_load_dwordx2 s[18:19], s[4:5], 0x28
	s_load_dwordx2 s[16:17], s[4:5], 0x0
	s_load_dwordx4 s[8:11], s[4:5], 0x18
	v_mov_b32_e32 v4, 0
	v_lshlrev_b32_e32 v3, 2, v0
	s_waitcnt lgkmcnt(0)
	s_lshr_b32 s0, s19, 31
	s_mul_i32 s6, s19, s6
	s_add_i32 s0, s19, s0
	s_ashr_i32 s7, s0, 1
	v_cmp_gt_i32_e64 s0, s7, v0
	s_and_saveexec_b32 s2, s0
	s_cbranch_execz .LBB23_4
; %bb.1:
	s_clause 0x1
	s_load_dwordx4 s[12:15], s[4:5], 0x8
	s_load_dword s1, s[4:5], 0x3c
	v_mov_b32_e32 v4, 0
	v_mov_b32_e32 v5, v0
	s_lshr_b32 s3, s6, 1
	s_waitcnt lgkmcnt(0)
	v_add_co_u32 v1, s14, s14, v3
	v_add_co_ci_u32_e64 v2, null, s15, 0, s14
	s_and_b32 s15, s1, 0xffff
	s_mov_b32 s14, 0
	s_lshl_b32 s20, s15, 2
.LBB23_2:                               ; =>This Inner Loop Header: Depth=1
	v_add_nc_u32_e32 v6, s3, v5
	v_add_nc_u32_e32 v5, s15, v5
	v_ashrrev_i32_e32 v7, 31, v6
	v_cmp_le_i32_e64 s1, s7, v5
	v_lshlrev_b64 v[6:7], 2, v[6:7]
	s_or_b32 s14, s1, s14
	v_add_co_u32 v8, vcc_lo, s12, v6
	v_add_co_ci_u32_e64 v9, null, s13, v7, vcc_lo
	v_add_co_u32 v6, vcc_lo, s16, v6
	v_add_co_ci_u32_e64 v7, null, s17, v7, vcc_lo
	global_load_dword v8, v[8:9], off
	global_load_dword v9, v[6:7], off
	;; [unrolled: 1-line block ×3, first 2 shown]
	s_waitcnt vmcnt(2)
	v_lshlrev_b32_e32 v11, 16, v8
	s_waitcnt vmcnt(1)
	v_lshlrev_b32_e32 v12, 16, v9
	v_and_b32_e32 v8, 0xffff0000, v8
	v_and_b32_e32 v9, 0xffff0000, v9
	v_add_f32_e32 v11, v12, v11
	v_add_f32_e32 v8, v9, v8
	v_bfe_u32 v9, v11, 16, 1
	v_or_b32_e32 v13, 0x400000, v11
	v_bfe_u32 v12, v8, 16, 1
	v_cmp_u_f32_e32 vcc_lo, v11, v11
	v_or_b32_e32 v14, 0x400000, v8
	v_add3_u32 v9, v9, v11, 0x7fff
	s_waitcnt vmcnt(0)
	v_lshlrev_b32_e32 v11, 16, v10
	v_add3_u32 v12, v12, v8, 0x7fff
	v_and_b32_e32 v10, 0xffff0000, v10
	v_cndmask_b32_e32 v9, v9, v13, vcc_lo
	v_cmp_u_f32_e32 vcc_lo, v8, v8
	v_and_b32_e32 v9, 0xffff0000, v9
	v_cndmask_b32_e32 v8, v12, v14, vcc_lo
	v_add_f32_e32 v9, v9, v11
	v_and_b32_e32 v8, 0xffff0000, v8
	v_or_b32_e32 v12, 0x400000, v9
	v_add_f32_e32 v8, v8, v10
	v_bfe_u32 v10, v9, 16, 1
	v_cmp_u_f32_e32 vcc_lo, v9, v9
	v_bfe_u32 v11, v8, 16, 1
	v_add3_u32 v10, v10, v9, 0x7fff
	v_or_b32_e32 v13, 0x400000, v8
	v_add3_u32 v11, v11, v8, 0x7fff
	v_cndmask_b32_e32 v9, v10, v12, vcc_lo
	v_cmp_u_f32_e32 vcc_lo, v8, v8
	v_and_b32_e32 v10, 0xffff0000, v9
	v_cndmask_b32_e32 v8, v11, v13, vcc_lo
	v_add_co_u32 v1, vcc_lo, v1, s20
	v_add_co_ci_u32_e64 v2, null, 0, v2, vcc_lo
	v_and_b32_e32 v11, 0xffff0000, v8
	v_add_f32_e32 v4, v4, v10
	v_perm_b32 v8, v8, v9, 0x7060302
	v_add_f32_e32 v4, v4, v11
	global_store_dword v[6:7], v8, off
	s_andn2_b32 exec_lo, exec_lo, s14
	s_cbranch_execnz .LBB23_2
; %bb.3:
	s_or_b32 exec_lo, exec_lo, s14
.LBB23_4:
	s_or_b32 exec_lo, exec_lo, s2
	v_mbcnt_lo_u32_b32 v6, -1, 0
	v_xor_b32_e32 v1, 16, v6
	v_xor_b32_e32 v2, 8, v6
	;; [unrolled: 1-line block ×3, first 2 shown]
	v_cmp_gt_i32_e32 vcc_lo, 32, v1
	v_cndmask_b32_e32 v1, v6, v1, vcc_lo
	v_cmp_gt_i32_e32 vcc_lo, 32, v2
	v_lshlrev_b32_e32 v1, 2, v1
	v_cndmask_b32_e32 v2, v6, v2, vcc_lo
	ds_bpermute_b32 v5, v1, v4
	v_lshlrev_b32_e32 v2, 2, v2
	s_waitcnt lgkmcnt(0)
	v_add_f32_e32 v5, v4, v5
	v_xor_b32_e32 v4, 4, v6
	ds_bpermute_b32 v7, v2, v5
	v_cmp_gt_i32_e32 vcc_lo, 32, v4
	v_cndmask_b32_e32 v4, v6, v4, vcc_lo
	v_lshlrev_b32_e32 v4, 2, v4
	s_waitcnt lgkmcnt(0)
	v_add_f32_e32 v7, v5, v7
	v_xor_b32_e32 v5, 2, v6
	ds_bpermute_b32 v8, v4, v7
	v_cmp_gt_i32_e32 vcc_lo, 32, v5
	v_cndmask_b32_e32 v5, v6, v5, vcc_lo
	v_cmp_gt_i32_e32 vcc_lo, 32, v9
	v_lshlrev_b32_e32 v5, 2, v5
	v_cndmask_b32_e32 v6, v6, v9, vcc_lo
	v_lshlrev_b32_e32 v6, 2, v6
	s_waitcnt lgkmcnt(0)
	v_add_f32_e32 v7, v7, v8
	ds_bpermute_b32 v8, v5, v7
	s_waitcnt lgkmcnt(0)
	v_add_f32_e32 v9, v7, v8
	v_and_b32_e32 v7, 31, v0
	v_lshrrev_b32_e32 v8, 3, v0
	ds_bpermute_b32 v10, v6, v9
	v_cmp_eq_u32_e64 s1, 0, v7
	s_and_saveexec_b32 s2, s1
	s_cbranch_execz .LBB23_6
; %bb.5:
	s_waitcnt lgkmcnt(0)
	v_add_f32_e32 v9, v9, v10
	ds_write_b32 v8, v9
.LBB23_6:
	s_or_b32 exec_lo, exec_lo, s2
	s_waitcnt lgkmcnt(0)
	s_waitcnt_vscnt null, 0x0
	s_barrier
	buffer_gl0_inv
	s_load_dword s4, s[4:5], 0x3c
	v_mov_b32_e32 v10, 0
	v_lshlrev_b32_e32 v9, 2, v7
	s_waitcnt lgkmcnt(0)
	s_bfe_u32 s2, s4, 0xb0005
	v_cmp_gt_u32_e64 s2, s2, v0
	s_and_saveexec_b32 s3, s2
; %bb.7:
	ds_read_b32 v10, v9
; %bb.8:
	s_or_b32 exec_lo, exec_lo, s3
	s_waitcnt lgkmcnt(0)
	ds_bpermute_b32 v7, v1, v10
	v_cmp_eq_u32_e64 s3, 0, v0
	s_waitcnt lgkmcnt(0)
	v_add_f32_e32 v7, v10, v7
	ds_bpermute_b32 v10, v2, v7
	s_waitcnt lgkmcnt(0)
	v_add_f32_e32 v7, v7, v10
	ds_bpermute_b32 v10, v4, v7
	;; [unrolled: 3-line block ×3, first 2 shown]
	s_waitcnt lgkmcnt(0)
	v_add_f32_e32 v10, v7, v10
	v_cvt_f32_i32_e32 v7, s19
	ds_bpermute_b32 v11, v6, v10
	s_and_saveexec_b32 s5, s3
	s_cbranch_execz .LBB23_10
; %bb.9:
	s_waitcnt lgkmcnt(0)
	v_add_f32_e32 v10, v10, v11
	v_div_scale_f32 v11, null, v7, v7, v10
	v_div_scale_f32 v14, vcc_lo, v10, v7, v10
	v_rcp_f32_e32 v12, v11
	v_fma_f32 v13, -v11, v12, 1.0
	v_fmac_f32_e32 v12, v13, v12
	v_mul_f32_e32 v13, v14, v12
	v_fma_f32 v15, -v11, v13, v14
	v_fmac_f32_e32 v13, v15, v12
	v_fma_f32 v11, -v11, v13, v14
	v_div_fmas_f32 v11, v11, v12, v13
	v_div_fixup_f32 v10, v11, v7, v10
	v_mov_b32_e32 v11, 0
	ds_write_b32 v11, v10 offset:132
.LBB23_10:
	s_or_b32 exec_lo, exec_lo, s5
	v_mov_b32_e32 v10, 0
	s_and_b32 s4, 0xffff, s4
	s_waitcnt lgkmcnt(0)
	s_barrier
	buffer_gl0_inv
	s_and_saveexec_b32 s5, s0
	s_cbranch_execz .LBB23_14
; %bb.11:
	v_mov_b32_e32 v10, 0
	v_mov_b32_e32 v12, v0
	s_lshr_b32 s13, s6, 1
	s_mov_b32 s12, 0
	ds_read_b32 v11, v10 offset:132
	.p2align	6
.LBB23_12:                              ; =>This Inner Loop Header: Depth=1
	v_add_nc_u32_e32 v13, s13, v12
	v_add_nc_u32_e32 v12, s4, v12
	v_ashrrev_i32_e32 v14, 31, v13
	v_lshlrev_b64 v[13:14], 2, v[13:14]
	v_add_co_u32 v13, vcc_lo, s16, v13
	v_add_co_ci_u32_e64 v14, null, s17, v14, vcc_lo
	v_cmp_le_i32_e32 vcc_lo, s7, v12
	global_load_dword v13, v[13:14], off
	s_or_b32 s12, vcc_lo, s12
	s_waitcnt vmcnt(0)
	v_lshlrev_b32_e32 v14, 16, v13
	v_and_b32_e32 v13, 0xffff0000, v13
	s_waitcnt lgkmcnt(0)
	v_sub_f32_e32 v14, v14, v11
	v_sub_f32_e32 v13, v13, v11
	v_fmac_f32_e32 v10, v14, v14
	v_fmac_f32_e32 v10, v13, v13
	s_andn2_b32 exec_lo, exec_lo, s12
	s_cbranch_execnz .LBB23_12
; %bb.13:
	s_or_b32 exec_lo, exec_lo, s12
.LBB23_14:
	s_or_b32 exec_lo, exec_lo, s5
	ds_bpermute_b32 v11, v1, v10
	s_waitcnt lgkmcnt(0)
	v_add_f32_e32 v10, v10, v11
	ds_bpermute_b32 v11, v2, v10
	s_waitcnt lgkmcnt(0)
	v_add_f32_e32 v10, v10, v11
	ds_bpermute_b32 v11, v4, v10
	s_waitcnt lgkmcnt(0)
	v_add_f32_e32 v10, v10, v11
	ds_bpermute_b32 v11, v5, v10
	s_waitcnt lgkmcnt(0)
	v_add_f32_e32 v10, v10, v11
	ds_bpermute_b32 v11, v6, v10
	s_and_saveexec_b32 s5, s1
	s_cbranch_execz .LBB23_16
; %bb.15:
	s_waitcnt lgkmcnt(0)
	v_add_f32_e32 v10, v10, v11
	ds_write_b32 v8, v10
.LBB23_16:
	s_or_b32 exec_lo, exec_lo, s5
	v_mov_b32_e32 v8, 0
	s_waitcnt lgkmcnt(0)
	s_barrier
	buffer_gl0_inv
	s_and_saveexec_b32 s1, s2
; %bb.17:
	ds_read_b32 v8, v9
; %bb.18:
	s_or_b32 exec_lo, exec_lo, s1
	s_waitcnt lgkmcnt(0)
	ds_bpermute_b32 v1, v1, v8
	s_waitcnt lgkmcnt(0)
	v_add_f32_e32 v1, v8, v1
	ds_bpermute_b32 v2, v2, v1
	s_waitcnt lgkmcnt(0)
	v_add_f32_e32 v1, v1, v2
	;; [unrolled: 3-line block ×4, first 2 shown]
	ds_bpermute_b32 v2, v6, v1
	s_and_saveexec_b32 s1, s3
	s_cbranch_execz .LBB23_20
; %bb.19:
	s_waitcnt lgkmcnt(0)
	v_add_f32_e32 v1, v1, v2
	v_div_scale_f32 v2, null, v7, v7, v1
	v_div_scale_f32 v6, vcc_lo, v1, v7, v1
	v_rcp_f32_e32 v4, v2
	v_fma_f32 v5, -v2, v4, 1.0
	v_fmac_f32_e32 v4, v5, v4
	v_mul_f32_e32 v5, v6, v4
	v_fma_f32 v8, -v2, v5, v6
	v_fmac_f32_e32 v5, v8, v4
	v_fma_f32 v2, -v2, v5, v6
	v_div_fmas_f32 v2, v2, v4, v5
	v_div_fixup_f32 v1, v2, v7, v1
	v_add_f32_e32 v1, s18, v1
	v_mul_f32_e32 v2, 0x4b800000, v1
	v_cmp_gt_f32_e32 vcc_lo, 0x800000, v1
	v_cndmask_b32_e32 v1, v1, v2, vcc_lo
	v_rsq_f32_e32 v1, v1
	v_mul_f32_e32 v2, 0x45800000, v1
	v_cndmask_b32_e32 v1, v1, v2, vcc_lo
	v_mov_b32_e32 v2, 0
	ds_write_b32 v2, v1 offset:128
.LBB23_20:
	s_or_b32 exec_lo, exec_lo, s1
	s_waitcnt lgkmcnt(0)
	s_barrier
	buffer_gl0_inv
	s_and_saveexec_b32 s1, s0
	s_cbranch_execz .LBB23_23
; %bb.21:
	v_mov_b32_e32 v4, 0
	s_lshr_b32 s1, s6, 1
	s_mov_b32 s2, 0
	s_lshl_b32 s3, s4, 2
	ds_read_b64 v[1:2], v4 offset:128
.LBB23_22:                              ; =>This Inner Loop Header: Depth=1
	v_add_nc_u32_e32 v5, s1, v0
	v_add_co_u32 v7, vcc_lo, s8, v3
	v_add_co_ci_u32_e64 v8, null, s9, v4, vcc_lo
	v_ashrrev_i32_e32 v6, 31, v5
	v_add_co_u32 v9, vcc_lo, s10, v3
	v_add_co_ci_u32_e64 v10, null, s11, v4, vcc_lo
	v_lshlrev_b64 v[5:6], 2, v[5:6]
	v_add_nc_u32_e32 v0, s4, v0
	v_add_co_u32 v5, s0, s16, v5
	v_add_co_ci_u32_e64 v6, null, s17, v6, s0
	global_load_dword v11, v[5:6], off
	global_load_dword v7, v[7:8], off
	;; [unrolled: 1-line block ×3, first 2 shown]
	s_waitcnt vmcnt(2)
	v_lshlrev_b32_e32 v9, 16, v11
	v_and_b32_e32 v10, 0xffff0000, v11
	s_waitcnt vmcnt(1)
	v_lshlrev_b32_e32 v11, 16, v7
	v_and_b32_e32 v7, 0xffff0000, v7
	s_waitcnt vmcnt(0)
	v_lshlrev_b32_e32 v12, 16, v8
	s_waitcnt lgkmcnt(0)
	v_sub_f32_e32 v9, v9, v2
	v_sub_f32_e32 v10, v10, v2
	v_and_b32_e32 v8, 0xffff0000, v8
	v_mul_f32_e32 v9, v9, v1
	v_mul_f32_e32 v10, v10, v1
	v_fmac_f32_e32 v12, v9, v11
	v_fmac_f32_e32 v8, v10, v7
	v_bfe_u32 v7, v12, 16, 1
	v_bfe_u32 v9, v8, 16, 1
	v_or_b32_e32 v10, 0x400000, v12
	v_or_b32_e32 v11, 0x400000, v8
	v_cmp_u_f32_e32 vcc_lo, v8, v8
	v_add3_u32 v7, v7, v12, 0x7fff
	v_add3_u32 v9, v9, v8, 0x7fff
	v_cmp_u_f32_e64 s0, v12, v12
	v_cndmask_b32_e32 v8, v9, v11, vcc_lo
	v_cndmask_b32_e64 v7, v7, v10, s0
	v_add_co_u32 v3, vcc_lo, v3, s3
	v_cmp_le_i32_e64 s0, s7, v0
	v_add_co_ci_u32_e64 v4, null, 0, v4, vcc_lo
	v_perm_b32 v7, v8, v7, 0x7060302
	s_or_b32 s2, s0, s2
	global_store_dword v[5:6], v7, off
	s_andn2_b32 exec_lo, exec_lo, s2
	s_cbranch_execnz .LBB23_22
.LBB23_23:
	s_endpgm
	.section	.rodata,"a",@progbits
	.p2align	6, 0x0
	.amdhsa_kernel _Z35generalAddBiasResidualPostLayerNormI14__hip_bfloat16Li32EEvPT_PKS1_S4_S4_S4_fi
		.amdhsa_group_segment_fixed_size 136
		.amdhsa_private_segment_fixed_size 0
		.amdhsa_kernarg_size 304
		.amdhsa_user_sgpr_count 6
		.amdhsa_user_sgpr_private_segment_buffer 1
		.amdhsa_user_sgpr_dispatch_ptr 0
		.amdhsa_user_sgpr_queue_ptr 0
		.amdhsa_user_sgpr_kernarg_segment_ptr 1
		.amdhsa_user_sgpr_dispatch_id 0
		.amdhsa_user_sgpr_flat_scratch_init 0
		.amdhsa_user_sgpr_private_segment_size 0
		.amdhsa_wavefront_size32 1
		.amdhsa_uses_dynamic_stack 0
		.amdhsa_system_sgpr_private_segment_wavefront_offset 0
		.amdhsa_system_sgpr_workgroup_id_x 1
		.amdhsa_system_sgpr_workgroup_id_y 0
		.amdhsa_system_sgpr_workgroup_id_z 0
		.amdhsa_system_sgpr_workgroup_info 0
		.amdhsa_system_vgpr_workitem_id 0
		.amdhsa_next_free_vgpr 16
		.amdhsa_next_free_sgpr 21
		.amdhsa_reserve_vcc 1
		.amdhsa_reserve_flat_scratch 0
		.amdhsa_float_round_mode_32 0
		.amdhsa_float_round_mode_16_64 0
		.amdhsa_float_denorm_mode_32 3
		.amdhsa_float_denorm_mode_16_64 3
		.amdhsa_dx10_clamp 1
		.amdhsa_ieee_mode 1
		.amdhsa_fp16_overflow 0
		.amdhsa_workgroup_processor_mode 1
		.amdhsa_memory_ordered 1
		.amdhsa_forward_progress 1
		.amdhsa_shared_vgpr_count 0
		.amdhsa_exception_fp_ieee_invalid_op 0
		.amdhsa_exception_fp_denorm_src 0
		.amdhsa_exception_fp_ieee_div_zero 0
		.amdhsa_exception_fp_ieee_overflow 0
		.amdhsa_exception_fp_ieee_underflow 0
		.amdhsa_exception_fp_ieee_inexact 0
		.amdhsa_exception_int_div_zero 0
	.end_amdhsa_kernel
	.section	.text._Z35generalAddBiasResidualPostLayerNormI14__hip_bfloat16Li32EEvPT_PKS1_S4_S4_S4_fi,"axG",@progbits,_Z35generalAddBiasResidualPostLayerNormI14__hip_bfloat16Li32EEvPT_PKS1_S4_S4_S4_fi,comdat
.Lfunc_end23:
	.size	_Z35generalAddBiasResidualPostLayerNormI14__hip_bfloat16Li32EEvPT_PKS1_S4_S4_S4_fi, .Lfunc_end23-_Z35generalAddBiasResidualPostLayerNormI14__hip_bfloat16Li32EEvPT_PKS1_S4_S4_S4_fi
                                        ; -- End function
	.set _Z35generalAddBiasResidualPostLayerNormI14__hip_bfloat16Li32EEvPT_PKS1_S4_S4_S4_fi.num_vgpr, 16
	.set _Z35generalAddBiasResidualPostLayerNormI14__hip_bfloat16Li32EEvPT_PKS1_S4_S4_S4_fi.num_agpr, 0
	.set _Z35generalAddBiasResidualPostLayerNormI14__hip_bfloat16Li32EEvPT_PKS1_S4_S4_S4_fi.numbered_sgpr, 21
	.set _Z35generalAddBiasResidualPostLayerNormI14__hip_bfloat16Li32EEvPT_PKS1_S4_S4_S4_fi.num_named_barrier, 0
	.set _Z35generalAddBiasResidualPostLayerNormI14__hip_bfloat16Li32EEvPT_PKS1_S4_S4_S4_fi.private_seg_size, 0
	.set _Z35generalAddBiasResidualPostLayerNormI14__hip_bfloat16Li32EEvPT_PKS1_S4_S4_S4_fi.uses_vcc, 1
	.set _Z35generalAddBiasResidualPostLayerNormI14__hip_bfloat16Li32EEvPT_PKS1_S4_S4_S4_fi.uses_flat_scratch, 0
	.set _Z35generalAddBiasResidualPostLayerNormI14__hip_bfloat16Li32EEvPT_PKS1_S4_S4_S4_fi.has_dyn_sized_stack, 0
	.set _Z35generalAddBiasResidualPostLayerNormI14__hip_bfloat16Li32EEvPT_PKS1_S4_S4_S4_fi.has_recursion, 0
	.set _Z35generalAddBiasResidualPostLayerNormI14__hip_bfloat16Li32EEvPT_PKS1_S4_S4_S4_fi.has_indirect_call, 0
	.section	.AMDGPU.csdata,"",@progbits
; Kernel info:
; codeLenInByte = 1904
; TotalNumSgprs: 23
; NumVgprs: 16
; ScratchSize: 0
; MemoryBound: 0
; FloatMode: 240
; IeeeMode: 1
; LDSByteSize: 136 bytes/workgroup (compile time only)
; SGPRBlocks: 0
; VGPRBlocks: 1
; NumSGPRsForWavesPerEU: 23
; NumVGPRsForWavesPerEU: 16
; Occupancy: 16
; WaveLimiterHint : 0
; COMPUTE_PGM_RSRC2:SCRATCH_EN: 0
; COMPUTE_PGM_RSRC2:USER_SGPR: 6
; COMPUTE_PGM_RSRC2:TRAP_HANDLER: 0
; COMPUTE_PGM_RSRC2:TGID_X_EN: 1
; COMPUTE_PGM_RSRC2:TGID_Y_EN: 0
; COMPUTE_PGM_RSRC2:TGID_Z_EN: 0
; COMPUTE_PGM_RSRC2:TIDIG_COMP_CNT: 0
	.section	.AMDGPU.gpr_maximums,"",@progbits
	.set amdgpu.max_num_vgpr, 0
	.set amdgpu.max_num_agpr, 0
	.set amdgpu.max_num_sgpr, 0
	.section	.AMDGPU.csdata,"",@progbits
	.type	__hip_cuid_fbf8f33d1f5d5642,@object ; @__hip_cuid_fbf8f33d1f5d5642
	.section	.bss,"aw",@nobits
	.globl	__hip_cuid_fbf8f33d1f5d5642
__hip_cuid_fbf8f33d1f5d5642:
	.byte	0                               ; 0x0
	.size	__hip_cuid_fbf8f33d1f5d5642, 1

	.ident	"AMD clang version 22.0.0git (https://github.com/RadeonOpenCompute/llvm-project roc-7.2.4 26084 f58b06dce1f9c15707c5f808fd002e18c2accf7e)"
	.section	".note.GNU-stack","",@progbits
	.addrsig
	.addrsig_sym __hip_cuid_fbf8f33d1f5d5642
	.amdgpu_metadata
---
amdhsa.kernels:
  - .args:
      - .address_space:  global
        .offset:         0
        .size:           8
        .value_kind:     global_buffer
      - .actual_access:  read_only
        .address_space:  global
        .offset:         8
        .size:           8
        .value_kind:     global_buffer
      - .actual_access:  read_only
        .address_space:  global
        .offset:         16
        .size:           8
        .value_kind:     global_buffer
      - .actual_access:  read_only
        .address_space:  global
        .offset:         24
        .size:           8
        .value_kind:     global_buffer
      - .actual_access:  read_only
        .address_space:  global
        .offset:         32
        .size:           8
        .value_kind:     global_buffer
      - .offset:         40
        .size:           4
        .value_kind:     by_value
      - .offset:         44
        .size:           4
        .value_kind:     by_value
      - .offset:         48
        .size:           4
        .value_kind:     hidden_block_count_x
      - .offset:         52
        .size:           4
        .value_kind:     hidden_block_count_y
      - .offset:         56
        .size:           4
        .value_kind:     hidden_block_count_z
      - .offset:         60
        .size:           2
        .value_kind:     hidden_group_size_x
      - .offset:         62
        .size:           2
        .value_kind:     hidden_group_size_y
      - .offset:         64
        .size:           2
        .value_kind:     hidden_group_size_z
      - .offset:         66
        .size:           2
        .value_kind:     hidden_remainder_x
      - .offset:         68
        .size:           2
        .value_kind:     hidden_remainder_y
      - .offset:         70
        .size:           2
        .value_kind:     hidden_remainder_z
      - .offset:         88
        .size:           8
        .value_kind:     hidden_global_offset_x
      - .offset:         96
        .size:           8
        .value_kind:     hidden_global_offset_y
      - .offset:         104
        .size:           8
        .value_kind:     hidden_global_offset_z
      - .offset:         112
        .size:           2
        .value_kind:     hidden_grid_dims
    .group_segment_fixed_size: 72
    .kernarg_segment_align: 8
    .kernarg_segment_size: 304
    .language:       OpenCL C
    .language_version:
      - 2
      - 0
    .max_flat_workgroup_size: 1024
    .name:           _Z30addBiasResidualPostLayerNormV2IfLi64EEvPT_PKS0_S3_S3_S3_fi
    .private_segment_fixed_size: 0
    .sgpr_count:     17
    .sgpr_spill_count: 0
    .symbol:         _Z30addBiasResidualPostLayerNormV2IfLi64EEvPT_PKS0_S3_S3_S3_fi.kd
    .uniform_work_group_size: 1
    .uses_dynamic_stack: false
    .vgpr_count:     36
    .vgpr_spill_count: 0
    .wavefront_size: 32
    .workgroup_processor_mode: 1
  - .args:
      - .address_space:  global
        .offset:         0
        .size:           8
        .value_kind:     global_buffer
      - .actual_access:  read_only
        .address_space:  global
        .offset:         8
        .size:           8
        .value_kind:     global_buffer
      - .actual_access:  read_only
        .address_space:  global
        .offset:         16
        .size:           8
        .value_kind:     global_buffer
      - .actual_access:  read_only
        .address_space:  global
        .offset:         24
        .size:           8
        .value_kind:     global_buffer
      - .actual_access:  read_only
        .address_space:  global
        .offset:         32
        .size:           8
        .value_kind:     global_buffer
      - .offset:         40
        .size:           4
        .value_kind:     by_value
      - .offset:         44
        .size:           4
        .value_kind:     by_value
      - .offset:         48
        .size:           4
        .value_kind:     hidden_block_count_x
      - .offset:         52
        .size:           4
        .value_kind:     hidden_block_count_y
      - .offset:         56
        .size:           4
        .value_kind:     hidden_block_count_z
      - .offset:         60
        .size:           2
        .value_kind:     hidden_group_size_x
      - .offset:         62
        .size:           2
        .value_kind:     hidden_group_size_y
      - .offset:         64
        .size:           2
        .value_kind:     hidden_group_size_z
      - .offset:         66
        .size:           2
        .value_kind:     hidden_remainder_x
      - .offset:         68
        .size:           2
        .value_kind:     hidden_remainder_y
      - .offset:         70
        .size:           2
        .value_kind:     hidden_remainder_z
      - .offset:         88
        .size:           8
        .value_kind:     hidden_global_offset_x
      - .offset:         96
        .size:           8
        .value_kind:     hidden_global_offset_y
      - .offset:         104
        .size:           8
        .value_kind:     hidden_global_offset_z
      - .offset:         112
        .size:           2
        .value_kind:     hidden_grid_dims
    .group_segment_fixed_size: 136
    .kernarg_segment_align: 8
    .kernarg_segment_size: 304
    .language:       OpenCL C
    .language_version:
      - 2
      - 0
    .max_flat_workgroup_size: 1024
    .name:           _Z30addBiasResidualPostLayerNormV2IfLi32EEvPT_PKS0_S3_S3_S3_fi
    .private_segment_fixed_size: 0
    .sgpr_count:     17
    .sgpr_spill_count: 0
    .symbol:         _Z30addBiasResidualPostLayerNormV2IfLi32EEvPT_PKS0_S3_S3_S3_fi.kd
    .uniform_work_group_size: 1
    .uses_dynamic_stack: false
    .vgpr_count:     34
    .vgpr_spill_count: 0
    .wavefront_size: 32
    .workgroup_processor_mode: 1
  - .args:
      - .address_space:  global
        .offset:         0
        .size:           8
        .value_kind:     global_buffer
      - .actual_access:  read_only
        .address_space:  global
        .offset:         8
        .size:           8
        .value_kind:     global_buffer
      - .actual_access:  read_only
        .address_space:  global
        .offset:         16
        .size:           8
        .value_kind:     global_buffer
      - .actual_access:  read_only
        .address_space:  global
        .offset:         24
        .size:           8
        .value_kind:     global_buffer
      - .actual_access:  read_only
        .address_space:  global
        .offset:         32
        .size:           8
        .value_kind:     global_buffer
      - .offset:         40
        .size:           4
        .value_kind:     by_value
      - .offset:         44
        .size:           4
        .value_kind:     by_value
      - .offset:         48
        .size:           4
        .value_kind:     hidden_block_count_x
      - .offset:         52
        .size:           4
        .value_kind:     hidden_block_count_y
      - .offset:         56
        .size:           4
        .value_kind:     hidden_block_count_z
      - .offset:         60
        .size:           2
        .value_kind:     hidden_group_size_x
      - .offset:         62
        .size:           2
        .value_kind:     hidden_group_size_y
      - .offset:         64
        .size:           2
        .value_kind:     hidden_group_size_z
      - .offset:         66
        .size:           2
        .value_kind:     hidden_remainder_x
      - .offset:         68
        .size:           2
        .value_kind:     hidden_remainder_y
      - .offset:         70
        .size:           2
        .value_kind:     hidden_remainder_z
      - .offset:         88
        .size:           8
        .value_kind:     hidden_global_offset_x
      - .offset:         96
        .size:           8
        .value_kind:     hidden_global_offset_y
      - .offset:         104
        .size:           8
        .value_kind:     hidden_global_offset_z
      - .offset:         112
        .size:           2
        .value_kind:     hidden_grid_dims
    .group_segment_fixed_size: 72
    .kernarg_segment_align: 8
    .kernarg_segment_size: 304
    .language:       OpenCL C
    .language_version:
      - 2
      - 0
    .max_flat_workgroup_size: 1024
    .name:           _Z28addBiasResidualPostLayerNormIfLi1ELi64EEvPT_PKS0_S3_S3_S3_fi
    .private_segment_fixed_size: 0
    .sgpr_count:     18
    .sgpr_spill_count: 0
    .symbol:         _Z28addBiasResidualPostLayerNormIfLi1ELi64EEvPT_PKS0_S3_S3_S3_fi.kd
    .uniform_work_group_size: 1
    .uses_dynamic_stack: false
    .vgpr_count:     18
    .vgpr_spill_count: 0
    .wavefront_size: 32
    .workgroup_processor_mode: 1
  - .args:
      - .address_space:  global
        .offset:         0
        .size:           8
        .value_kind:     global_buffer
      - .actual_access:  read_only
        .address_space:  global
        .offset:         8
        .size:           8
        .value_kind:     global_buffer
      - .actual_access:  read_only
        .address_space:  global
        .offset:         16
        .size:           8
        .value_kind:     global_buffer
      - .actual_access:  read_only
        .address_space:  global
        .offset:         24
        .size:           8
        .value_kind:     global_buffer
      - .actual_access:  read_only
        .address_space:  global
        .offset:         32
        .size:           8
        .value_kind:     global_buffer
      - .offset:         40
        .size:           4
        .value_kind:     by_value
      - .offset:         44
        .size:           4
        .value_kind:     by_value
      - .offset:         48
        .size:           4
        .value_kind:     hidden_block_count_x
      - .offset:         52
        .size:           4
        .value_kind:     hidden_block_count_y
      - .offset:         56
        .size:           4
        .value_kind:     hidden_block_count_z
      - .offset:         60
        .size:           2
        .value_kind:     hidden_group_size_x
      - .offset:         62
        .size:           2
        .value_kind:     hidden_group_size_y
      - .offset:         64
        .size:           2
        .value_kind:     hidden_group_size_z
      - .offset:         66
        .size:           2
        .value_kind:     hidden_remainder_x
      - .offset:         68
        .size:           2
        .value_kind:     hidden_remainder_y
      - .offset:         70
        .size:           2
        .value_kind:     hidden_remainder_z
      - .offset:         88
        .size:           8
        .value_kind:     hidden_global_offset_x
      - .offset:         96
        .size:           8
        .value_kind:     hidden_global_offset_y
      - .offset:         104
        .size:           8
        .value_kind:     hidden_global_offset_z
      - .offset:         112
        .size:           2
        .value_kind:     hidden_grid_dims
    .group_segment_fixed_size: 72
    .kernarg_segment_align: 8
    .kernarg_segment_size: 304
    .language:       OpenCL C
    .language_version:
      - 2
      - 0
    .max_flat_workgroup_size: 1024
    .name:           _Z28addBiasResidualPostLayerNormIfLi2ELi64EEvPT_PKS0_S3_S3_S3_fi
    .private_segment_fixed_size: 0
    .sgpr_count:     18
    .sgpr_spill_count: 0
    .symbol:         _Z28addBiasResidualPostLayerNormIfLi2ELi64EEvPT_PKS0_S3_S3_S3_fi.kd
    .uniform_work_group_size: 1
    .uses_dynamic_stack: false
    .vgpr_count:     20
    .vgpr_spill_count: 0
    .wavefront_size: 32
    .workgroup_processor_mode: 1
  - .args:
      - .address_space:  global
        .offset:         0
        .size:           8
        .value_kind:     global_buffer
      - .actual_access:  read_only
        .address_space:  global
        .offset:         8
        .size:           8
        .value_kind:     global_buffer
      - .actual_access:  read_only
        .address_space:  global
        .offset:         16
        .size:           8
        .value_kind:     global_buffer
      - .actual_access:  read_only
        .address_space:  global
        .offset:         24
        .size:           8
        .value_kind:     global_buffer
      - .actual_access:  read_only
        .address_space:  global
        .offset:         32
        .size:           8
        .value_kind:     global_buffer
      - .offset:         40
        .size:           4
        .value_kind:     by_value
      - .offset:         44
        .size:           4
        .value_kind:     by_value
      - .offset:         48
        .size:           4
        .value_kind:     hidden_block_count_x
      - .offset:         52
        .size:           4
        .value_kind:     hidden_block_count_y
      - .offset:         56
        .size:           4
        .value_kind:     hidden_block_count_z
      - .offset:         60
        .size:           2
        .value_kind:     hidden_group_size_x
      - .offset:         62
        .size:           2
        .value_kind:     hidden_group_size_y
      - .offset:         64
        .size:           2
        .value_kind:     hidden_group_size_z
      - .offset:         66
        .size:           2
        .value_kind:     hidden_remainder_x
      - .offset:         68
        .size:           2
        .value_kind:     hidden_remainder_y
      - .offset:         70
        .size:           2
        .value_kind:     hidden_remainder_z
      - .offset:         88
        .size:           8
        .value_kind:     hidden_global_offset_x
      - .offset:         96
        .size:           8
        .value_kind:     hidden_global_offset_y
      - .offset:         104
        .size:           8
        .value_kind:     hidden_global_offset_z
      - .offset:         112
        .size:           2
        .value_kind:     hidden_grid_dims
    .group_segment_fixed_size: 72
    .kernarg_segment_align: 8
    .kernarg_segment_size: 304
    .language:       OpenCL C
    .language_version:
      - 2
      - 0
    .max_flat_workgroup_size: 1024
    .name:           _Z35generalAddBiasResidualPostLayerNormIfLi64EEvPT_PKS0_S3_S3_S3_fi
    .private_segment_fixed_size: 0
    .sgpr_count:     23
    .sgpr_spill_count: 0
    .symbol:         _Z35generalAddBiasResidualPostLayerNormIfLi64EEvPT_PKS0_S3_S3_S3_fi.kd
    .uniform_work_group_size: 1
    .uses_dynamic_stack: false
    .vgpr_count:     16
    .vgpr_spill_count: 0
    .wavefront_size: 32
    .workgroup_processor_mode: 1
  - .args:
      - .address_space:  global
        .offset:         0
        .size:           8
        .value_kind:     global_buffer
      - .actual_access:  read_only
        .address_space:  global
        .offset:         8
        .size:           8
        .value_kind:     global_buffer
      - .actual_access:  read_only
        .address_space:  global
        .offset:         16
        .size:           8
        .value_kind:     global_buffer
      - .actual_access:  read_only
        .address_space:  global
        .offset:         24
        .size:           8
        .value_kind:     global_buffer
      - .actual_access:  read_only
        .address_space:  global
        .offset:         32
        .size:           8
        .value_kind:     global_buffer
      - .offset:         40
        .size:           4
        .value_kind:     by_value
      - .offset:         44
        .size:           4
        .value_kind:     by_value
      - .offset:         48
        .size:           4
        .value_kind:     hidden_block_count_x
      - .offset:         52
        .size:           4
        .value_kind:     hidden_block_count_y
      - .offset:         56
        .size:           4
        .value_kind:     hidden_block_count_z
      - .offset:         60
        .size:           2
        .value_kind:     hidden_group_size_x
      - .offset:         62
        .size:           2
        .value_kind:     hidden_group_size_y
      - .offset:         64
        .size:           2
        .value_kind:     hidden_group_size_z
      - .offset:         66
        .size:           2
        .value_kind:     hidden_remainder_x
      - .offset:         68
        .size:           2
        .value_kind:     hidden_remainder_y
      - .offset:         70
        .size:           2
        .value_kind:     hidden_remainder_z
      - .offset:         88
        .size:           8
        .value_kind:     hidden_global_offset_x
      - .offset:         96
        .size:           8
        .value_kind:     hidden_global_offset_y
      - .offset:         104
        .size:           8
        .value_kind:     hidden_global_offset_z
      - .offset:         112
        .size:           2
        .value_kind:     hidden_grid_dims
    .group_segment_fixed_size: 136
    .kernarg_segment_align: 8
    .kernarg_segment_size: 304
    .language:       OpenCL C
    .language_version:
      - 2
      - 0
    .max_flat_workgroup_size: 1024
    .name:           _Z28addBiasResidualPostLayerNormIfLi1ELi32EEvPT_PKS0_S3_S3_S3_fi
    .private_segment_fixed_size: 0
    .sgpr_count:     18
    .sgpr_spill_count: 0
    .symbol:         _Z28addBiasResidualPostLayerNormIfLi1ELi32EEvPT_PKS0_S3_S3_S3_fi.kd
    .uniform_work_group_size: 1
    .uses_dynamic_stack: false
    .vgpr_count:     17
    .vgpr_spill_count: 0
    .wavefront_size: 32
    .workgroup_processor_mode: 1
  - .args:
      - .address_space:  global
        .offset:         0
        .size:           8
        .value_kind:     global_buffer
      - .actual_access:  read_only
        .address_space:  global
        .offset:         8
        .size:           8
        .value_kind:     global_buffer
      - .actual_access:  read_only
        .address_space:  global
        .offset:         16
        .size:           8
        .value_kind:     global_buffer
      - .actual_access:  read_only
        .address_space:  global
        .offset:         24
        .size:           8
        .value_kind:     global_buffer
      - .actual_access:  read_only
        .address_space:  global
        .offset:         32
        .size:           8
        .value_kind:     global_buffer
      - .offset:         40
        .size:           4
        .value_kind:     by_value
      - .offset:         44
        .size:           4
        .value_kind:     by_value
      - .offset:         48
        .size:           4
        .value_kind:     hidden_block_count_x
      - .offset:         52
        .size:           4
        .value_kind:     hidden_block_count_y
      - .offset:         56
        .size:           4
        .value_kind:     hidden_block_count_z
      - .offset:         60
        .size:           2
        .value_kind:     hidden_group_size_x
      - .offset:         62
        .size:           2
        .value_kind:     hidden_group_size_y
      - .offset:         64
        .size:           2
        .value_kind:     hidden_group_size_z
      - .offset:         66
        .size:           2
        .value_kind:     hidden_remainder_x
      - .offset:         68
        .size:           2
        .value_kind:     hidden_remainder_y
      - .offset:         70
        .size:           2
        .value_kind:     hidden_remainder_z
      - .offset:         88
        .size:           8
        .value_kind:     hidden_global_offset_x
      - .offset:         96
        .size:           8
        .value_kind:     hidden_global_offset_y
      - .offset:         104
        .size:           8
        .value_kind:     hidden_global_offset_z
      - .offset:         112
        .size:           2
        .value_kind:     hidden_grid_dims
    .group_segment_fixed_size: 136
    .kernarg_segment_align: 8
    .kernarg_segment_size: 304
    .language:       OpenCL C
    .language_version:
      - 2
      - 0
    .max_flat_workgroup_size: 1024
    .name:           _Z28addBiasResidualPostLayerNormIfLi2ELi32EEvPT_PKS0_S3_S3_S3_fi
    .private_segment_fixed_size: 0
    .sgpr_count:     18
    .sgpr_spill_count: 0
    .symbol:         _Z28addBiasResidualPostLayerNormIfLi2ELi32EEvPT_PKS0_S3_S3_S3_fi.kd
    .uniform_work_group_size: 1
    .uses_dynamic_stack: false
    .vgpr_count:     19
    .vgpr_spill_count: 0
    .wavefront_size: 32
    .workgroup_processor_mode: 1
  - .args:
      - .address_space:  global
        .offset:         0
        .size:           8
        .value_kind:     global_buffer
      - .actual_access:  read_only
        .address_space:  global
        .offset:         8
        .size:           8
        .value_kind:     global_buffer
      - .actual_access:  read_only
        .address_space:  global
        .offset:         16
        .size:           8
        .value_kind:     global_buffer
      - .actual_access:  read_only
        .address_space:  global
        .offset:         24
        .size:           8
        .value_kind:     global_buffer
      - .actual_access:  read_only
        .address_space:  global
        .offset:         32
        .size:           8
        .value_kind:     global_buffer
      - .offset:         40
        .size:           4
        .value_kind:     by_value
      - .offset:         44
        .size:           4
        .value_kind:     by_value
      - .offset:         48
        .size:           4
        .value_kind:     hidden_block_count_x
      - .offset:         52
        .size:           4
        .value_kind:     hidden_block_count_y
      - .offset:         56
        .size:           4
        .value_kind:     hidden_block_count_z
      - .offset:         60
        .size:           2
        .value_kind:     hidden_group_size_x
      - .offset:         62
        .size:           2
        .value_kind:     hidden_group_size_y
      - .offset:         64
        .size:           2
        .value_kind:     hidden_group_size_z
      - .offset:         66
        .size:           2
        .value_kind:     hidden_remainder_x
      - .offset:         68
        .size:           2
        .value_kind:     hidden_remainder_y
      - .offset:         70
        .size:           2
        .value_kind:     hidden_remainder_z
      - .offset:         88
        .size:           8
        .value_kind:     hidden_global_offset_x
      - .offset:         96
        .size:           8
        .value_kind:     hidden_global_offset_y
      - .offset:         104
        .size:           8
        .value_kind:     hidden_global_offset_z
      - .offset:         112
        .size:           2
        .value_kind:     hidden_grid_dims
    .group_segment_fixed_size: 136
    .kernarg_segment_align: 8
    .kernarg_segment_size: 304
    .language:       OpenCL C
    .language_version:
      - 2
      - 0
    .max_flat_workgroup_size: 1024
    .name:           _Z35generalAddBiasResidualPostLayerNormIfLi32EEvPT_PKS0_S3_S3_S3_fi
    .private_segment_fixed_size: 0
    .sgpr_count:     23
    .sgpr_spill_count: 0
    .symbol:         _Z35generalAddBiasResidualPostLayerNormIfLi32EEvPT_PKS0_S3_S3_S3_fi.kd
    .uniform_work_group_size: 1
    .uses_dynamic_stack: false
    .vgpr_count:     15
    .vgpr_spill_count: 0
    .wavefront_size: 32
    .workgroup_processor_mode: 1
  - .args:
      - .address_space:  global
        .offset:         0
        .size:           8
        .value_kind:     global_buffer
      - .actual_access:  read_only
        .address_space:  global
        .offset:         8
        .size:           8
        .value_kind:     global_buffer
      - .actual_access:  read_only
        .address_space:  global
        .offset:         16
        .size:           8
        .value_kind:     global_buffer
      - .actual_access:  read_only
        .address_space:  global
        .offset:         24
        .size:           8
        .value_kind:     global_buffer
      - .actual_access:  read_only
        .address_space:  global
        .offset:         32
        .size:           8
        .value_kind:     global_buffer
      - .offset:         40
        .size:           4
        .value_kind:     by_value
      - .offset:         44
        .size:           4
        .value_kind:     by_value
      - .offset:         48
        .size:           4
        .value_kind:     hidden_block_count_x
      - .offset:         52
        .size:           4
        .value_kind:     hidden_block_count_y
      - .offset:         56
        .size:           4
        .value_kind:     hidden_block_count_z
      - .offset:         60
        .size:           2
        .value_kind:     hidden_group_size_x
      - .offset:         62
        .size:           2
        .value_kind:     hidden_group_size_y
      - .offset:         64
        .size:           2
        .value_kind:     hidden_group_size_z
      - .offset:         66
        .size:           2
        .value_kind:     hidden_remainder_x
      - .offset:         68
        .size:           2
        .value_kind:     hidden_remainder_y
      - .offset:         70
        .size:           2
        .value_kind:     hidden_remainder_z
      - .offset:         88
        .size:           8
        .value_kind:     hidden_global_offset_x
      - .offset:         96
        .size:           8
        .value_kind:     hidden_global_offset_y
      - .offset:         104
        .size:           8
        .value_kind:     hidden_global_offset_z
      - .offset:         112
        .size:           2
        .value_kind:     hidden_grid_dims
    .group_segment_fixed_size: 72
    .kernarg_segment_align: 8
    .kernarg_segment_size: 304
    .language:       OpenCL C
    .language_version:
      - 2
      - 0
    .max_flat_workgroup_size: 1024
    .name:           _Z30addBiasResidualPostLayerNormV2I6__halfLi64EEvPT_PKS1_S4_S4_S4_fi
    .private_segment_fixed_size: 0
    .sgpr_count:     17
    .sgpr_spill_count: 0
    .symbol:         _Z30addBiasResidualPostLayerNormV2I6__halfLi64EEvPT_PKS1_S4_S4_S4_fi.kd
    .uniform_work_group_size: 1
    .uses_dynamic_stack: false
    .vgpr_count:     23
    .vgpr_spill_count: 0
    .wavefront_size: 32
    .workgroup_processor_mode: 1
  - .args:
      - .address_space:  global
        .offset:         0
        .size:           8
        .value_kind:     global_buffer
      - .actual_access:  read_only
        .address_space:  global
        .offset:         8
        .size:           8
        .value_kind:     global_buffer
      - .actual_access:  read_only
        .address_space:  global
        .offset:         16
        .size:           8
        .value_kind:     global_buffer
      - .actual_access:  read_only
        .address_space:  global
        .offset:         24
        .size:           8
        .value_kind:     global_buffer
      - .actual_access:  read_only
        .address_space:  global
        .offset:         32
        .size:           8
        .value_kind:     global_buffer
      - .offset:         40
        .size:           4
        .value_kind:     by_value
      - .offset:         44
        .size:           4
        .value_kind:     by_value
      - .offset:         48
        .size:           4
        .value_kind:     hidden_block_count_x
      - .offset:         52
        .size:           4
        .value_kind:     hidden_block_count_y
      - .offset:         56
        .size:           4
        .value_kind:     hidden_block_count_z
      - .offset:         60
        .size:           2
        .value_kind:     hidden_group_size_x
      - .offset:         62
        .size:           2
        .value_kind:     hidden_group_size_y
      - .offset:         64
        .size:           2
        .value_kind:     hidden_group_size_z
      - .offset:         66
        .size:           2
        .value_kind:     hidden_remainder_x
      - .offset:         68
        .size:           2
        .value_kind:     hidden_remainder_y
      - .offset:         70
        .size:           2
        .value_kind:     hidden_remainder_z
      - .offset:         88
        .size:           8
        .value_kind:     hidden_global_offset_x
      - .offset:         96
        .size:           8
        .value_kind:     hidden_global_offset_y
      - .offset:         104
        .size:           8
        .value_kind:     hidden_global_offset_z
      - .offset:         112
        .size:           2
        .value_kind:     hidden_grid_dims
    .group_segment_fixed_size: 136
    .kernarg_segment_align: 8
    .kernarg_segment_size: 304
    .language:       OpenCL C
    .language_version:
      - 2
      - 0
    .max_flat_workgroup_size: 1024
    .name:           _Z30addBiasResidualPostLayerNormV2I6__halfLi32EEvPT_PKS1_S4_S4_S4_fi
    .private_segment_fixed_size: 0
    .sgpr_count:     16
    .sgpr_spill_count: 0
    .symbol:         _Z30addBiasResidualPostLayerNormV2I6__halfLi32EEvPT_PKS1_S4_S4_S4_fi.kd
    .uniform_work_group_size: 1
    .uses_dynamic_stack: false
    .vgpr_count:     27
    .vgpr_spill_count: 0
    .wavefront_size: 32
    .workgroup_processor_mode: 1
  - .args:
      - .address_space:  global
        .offset:         0
        .size:           8
        .value_kind:     global_buffer
      - .actual_access:  read_only
        .address_space:  global
        .offset:         8
        .size:           8
        .value_kind:     global_buffer
      - .actual_access:  read_only
        .address_space:  global
        .offset:         16
        .size:           8
        .value_kind:     global_buffer
      - .actual_access:  read_only
        .address_space:  global
        .offset:         24
        .size:           8
        .value_kind:     global_buffer
      - .actual_access:  read_only
        .address_space:  global
        .offset:         32
        .size:           8
        .value_kind:     global_buffer
      - .offset:         40
        .size:           4
        .value_kind:     by_value
      - .offset:         44
        .size:           4
        .value_kind:     by_value
      - .offset:         48
        .size:           4
        .value_kind:     hidden_block_count_x
      - .offset:         52
        .size:           4
        .value_kind:     hidden_block_count_y
      - .offset:         56
        .size:           4
        .value_kind:     hidden_block_count_z
      - .offset:         60
        .size:           2
        .value_kind:     hidden_group_size_x
      - .offset:         62
        .size:           2
        .value_kind:     hidden_group_size_y
      - .offset:         64
        .size:           2
        .value_kind:     hidden_group_size_z
      - .offset:         66
        .size:           2
        .value_kind:     hidden_remainder_x
      - .offset:         68
        .size:           2
        .value_kind:     hidden_remainder_y
      - .offset:         70
        .size:           2
        .value_kind:     hidden_remainder_z
      - .offset:         88
        .size:           8
        .value_kind:     hidden_global_offset_x
      - .offset:         96
        .size:           8
        .value_kind:     hidden_global_offset_y
      - .offset:         104
        .size:           8
        .value_kind:     hidden_global_offset_z
      - .offset:         112
        .size:           2
        .value_kind:     hidden_grid_dims
    .group_segment_fixed_size: 72
    .kernarg_segment_align: 8
    .kernarg_segment_size: 304
    .language:       OpenCL C
    .language_version:
      - 2
      - 0
    .max_flat_workgroup_size: 1024
    .name:           _Z28addBiasResidualPostLayerNormI6__halfLi1ELi64EEvPT_PKS1_S4_S4_S4_fi
    .private_segment_fixed_size: 0
    .sgpr_count:     18
    .sgpr_spill_count: 0
    .symbol:         _Z28addBiasResidualPostLayerNormI6__halfLi1ELi64EEvPT_PKS1_S4_S4_S4_fi.kd
    .uniform_work_group_size: 1
    .uses_dynamic_stack: false
    .vgpr_count:     18
    .vgpr_spill_count: 0
    .wavefront_size: 32
    .workgroup_processor_mode: 1
  - .args:
      - .address_space:  global
        .offset:         0
        .size:           8
        .value_kind:     global_buffer
      - .actual_access:  read_only
        .address_space:  global
        .offset:         8
        .size:           8
        .value_kind:     global_buffer
      - .actual_access:  read_only
        .address_space:  global
        .offset:         16
        .size:           8
        .value_kind:     global_buffer
      - .actual_access:  read_only
        .address_space:  global
        .offset:         24
        .size:           8
        .value_kind:     global_buffer
      - .actual_access:  read_only
        .address_space:  global
        .offset:         32
        .size:           8
        .value_kind:     global_buffer
      - .offset:         40
        .size:           4
        .value_kind:     by_value
      - .offset:         44
        .size:           4
        .value_kind:     by_value
      - .offset:         48
        .size:           4
        .value_kind:     hidden_block_count_x
      - .offset:         52
        .size:           4
        .value_kind:     hidden_block_count_y
      - .offset:         56
        .size:           4
        .value_kind:     hidden_block_count_z
      - .offset:         60
        .size:           2
        .value_kind:     hidden_group_size_x
      - .offset:         62
        .size:           2
        .value_kind:     hidden_group_size_y
      - .offset:         64
        .size:           2
        .value_kind:     hidden_group_size_z
      - .offset:         66
        .size:           2
        .value_kind:     hidden_remainder_x
      - .offset:         68
        .size:           2
        .value_kind:     hidden_remainder_y
      - .offset:         70
        .size:           2
        .value_kind:     hidden_remainder_z
      - .offset:         88
        .size:           8
        .value_kind:     hidden_global_offset_x
      - .offset:         96
        .size:           8
        .value_kind:     hidden_global_offset_y
      - .offset:         104
        .size:           8
        .value_kind:     hidden_global_offset_z
      - .offset:         112
        .size:           2
        .value_kind:     hidden_grid_dims
    .group_segment_fixed_size: 72
    .kernarg_segment_align: 8
    .kernarg_segment_size: 304
    .language:       OpenCL C
    .language_version:
      - 2
      - 0
    .max_flat_workgroup_size: 1024
    .name:           _Z28addBiasResidualPostLayerNormI6__halfLi2ELi64EEvPT_PKS1_S4_S4_S4_fi
    .private_segment_fixed_size: 0
    .sgpr_count:     18
    .sgpr_spill_count: 0
    .symbol:         _Z28addBiasResidualPostLayerNormI6__halfLi2ELi64EEvPT_PKS1_S4_S4_S4_fi.kd
    .uniform_work_group_size: 1
    .uses_dynamic_stack: false
    .vgpr_count:     20
    .vgpr_spill_count: 0
    .wavefront_size: 32
    .workgroup_processor_mode: 1
  - .args:
      - .address_space:  global
        .offset:         0
        .size:           8
        .value_kind:     global_buffer
      - .actual_access:  read_only
        .address_space:  global
        .offset:         8
        .size:           8
        .value_kind:     global_buffer
      - .actual_access:  read_only
        .address_space:  global
        .offset:         16
        .size:           8
        .value_kind:     global_buffer
      - .actual_access:  read_only
        .address_space:  global
        .offset:         24
        .size:           8
        .value_kind:     global_buffer
      - .actual_access:  read_only
        .address_space:  global
        .offset:         32
        .size:           8
        .value_kind:     global_buffer
      - .offset:         40
        .size:           4
        .value_kind:     by_value
      - .offset:         44
        .size:           4
        .value_kind:     by_value
      - .offset:         48
        .size:           4
        .value_kind:     hidden_block_count_x
      - .offset:         52
        .size:           4
        .value_kind:     hidden_block_count_y
      - .offset:         56
        .size:           4
        .value_kind:     hidden_block_count_z
      - .offset:         60
        .size:           2
        .value_kind:     hidden_group_size_x
      - .offset:         62
        .size:           2
        .value_kind:     hidden_group_size_y
      - .offset:         64
        .size:           2
        .value_kind:     hidden_group_size_z
      - .offset:         66
        .size:           2
        .value_kind:     hidden_remainder_x
      - .offset:         68
        .size:           2
        .value_kind:     hidden_remainder_y
      - .offset:         70
        .size:           2
        .value_kind:     hidden_remainder_z
      - .offset:         88
        .size:           8
        .value_kind:     hidden_global_offset_x
      - .offset:         96
        .size:           8
        .value_kind:     hidden_global_offset_y
      - .offset:         104
        .size:           8
        .value_kind:     hidden_global_offset_z
      - .offset:         112
        .size:           2
        .value_kind:     hidden_grid_dims
    .group_segment_fixed_size: 72
    .kernarg_segment_align: 8
    .kernarg_segment_size: 304
    .language:       OpenCL C
    .language_version:
      - 2
      - 0
    .max_flat_workgroup_size: 1024
    .name:           _Z35generalAddBiasResidualPostLayerNormI6__halfLi64EEvPT_PKS1_S4_S4_S4_fi
    .private_segment_fixed_size: 0
    .sgpr_count:     23
    .sgpr_spill_count: 0
    .symbol:         _Z35generalAddBiasResidualPostLayerNormI6__halfLi64EEvPT_PKS1_S4_S4_S4_fi.kd
    .uniform_work_group_size: 1
    .uses_dynamic_stack: false
    .vgpr_count:     17
    .vgpr_spill_count: 0
    .wavefront_size: 32
    .workgroup_processor_mode: 1
  - .args:
      - .address_space:  global
        .offset:         0
        .size:           8
        .value_kind:     global_buffer
      - .actual_access:  read_only
        .address_space:  global
        .offset:         8
        .size:           8
        .value_kind:     global_buffer
      - .actual_access:  read_only
        .address_space:  global
        .offset:         16
        .size:           8
        .value_kind:     global_buffer
      - .actual_access:  read_only
        .address_space:  global
        .offset:         24
        .size:           8
        .value_kind:     global_buffer
      - .actual_access:  read_only
        .address_space:  global
        .offset:         32
        .size:           8
        .value_kind:     global_buffer
      - .offset:         40
        .size:           4
        .value_kind:     by_value
      - .offset:         44
        .size:           4
        .value_kind:     by_value
      - .offset:         48
        .size:           4
        .value_kind:     hidden_block_count_x
      - .offset:         52
        .size:           4
        .value_kind:     hidden_block_count_y
      - .offset:         56
        .size:           4
        .value_kind:     hidden_block_count_z
      - .offset:         60
        .size:           2
        .value_kind:     hidden_group_size_x
      - .offset:         62
        .size:           2
        .value_kind:     hidden_group_size_y
      - .offset:         64
        .size:           2
        .value_kind:     hidden_group_size_z
      - .offset:         66
        .size:           2
        .value_kind:     hidden_remainder_x
      - .offset:         68
        .size:           2
        .value_kind:     hidden_remainder_y
      - .offset:         70
        .size:           2
        .value_kind:     hidden_remainder_z
      - .offset:         88
        .size:           8
        .value_kind:     hidden_global_offset_x
      - .offset:         96
        .size:           8
        .value_kind:     hidden_global_offset_y
      - .offset:         104
        .size:           8
        .value_kind:     hidden_global_offset_z
      - .offset:         112
        .size:           2
        .value_kind:     hidden_grid_dims
    .group_segment_fixed_size: 136
    .kernarg_segment_align: 8
    .kernarg_segment_size: 304
    .language:       OpenCL C
    .language_version:
      - 2
      - 0
    .max_flat_workgroup_size: 1024
    .name:           _Z28addBiasResidualPostLayerNormI6__halfLi1ELi32EEvPT_PKS1_S4_S4_S4_fi
    .private_segment_fixed_size: 0
    .sgpr_count:     18
    .sgpr_spill_count: 0
    .symbol:         _Z28addBiasResidualPostLayerNormI6__halfLi1ELi32EEvPT_PKS1_S4_S4_S4_fi.kd
    .uniform_work_group_size: 1
    .uses_dynamic_stack: false
    .vgpr_count:     17
    .vgpr_spill_count: 0
    .wavefront_size: 32
    .workgroup_processor_mode: 1
  - .args:
      - .address_space:  global
        .offset:         0
        .size:           8
        .value_kind:     global_buffer
      - .actual_access:  read_only
        .address_space:  global
        .offset:         8
        .size:           8
        .value_kind:     global_buffer
      - .actual_access:  read_only
        .address_space:  global
        .offset:         16
        .size:           8
        .value_kind:     global_buffer
      - .actual_access:  read_only
        .address_space:  global
        .offset:         24
        .size:           8
        .value_kind:     global_buffer
      - .actual_access:  read_only
        .address_space:  global
        .offset:         32
        .size:           8
        .value_kind:     global_buffer
      - .offset:         40
        .size:           4
        .value_kind:     by_value
      - .offset:         44
        .size:           4
        .value_kind:     by_value
      - .offset:         48
        .size:           4
        .value_kind:     hidden_block_count_x
      - .offset:         52
        .size:           4
        .value_kind:     hidden_block_count_y
      - .offset:         56
        .size:           4
        .value_kind:     hidden_block_count_z
      - .offset:         60
        .size:           2
        .value_kind:     hidden_group_size_x
      - .offset:         62
        .size:           2
        .value_kind:     hidden_group_size_y
      - .offset:         64
        .size:           2
        .value_kind:     hidden_group_size_z
      - .offset:         66
        .size:           2
        .value_kind:     hidden_remainder_x
      - .offset:         68
        .size:           2
        .value_kind:     hidden_remainder_y
      - .offset:         70
        .size:           2
        .value_kind:     hidden_remainder_z
      - .offset:         88
        .size:           8
        .value_kind:     hidden_global_offset_x
      - .offset:         96
        .size:           8
        .value_kind:     hidden_global_offset_y
      - .offset:         104
        .size:           8
        .value_kind:     hidden_global_offset_z
      - .offset:         112
        .size:           2
        .value_kind:     hidden_grid_dims
    .group_segment_fixed_size: 136
    .kernarg_segment_align: 8
    .kernarg_segment_size: 304
    .language:       OpenCL C
    .language_version:
      - 2
      - 0
    .max_flat_workgroup_size: 1024
    .name:           _Z28addBiasResidualPostLayerNormI6__halfLi2ELi32EEvPT_PKS1_S4_S4_S4_fi
    .private_segment_fixed_size: 0
    .sgpr_count:     18
    .sgpr_spill_count: 0
    .symbol:         _Z28addBiasResidualPostLayerNormI6__halfLi2ELi32EEvPT_PKS1_S4_S4_S4_fi.kd
    .uniform_work_group_size: 1
    .uses_dynamic_stack: false
    .vgpr_count:     19
    .vgpr_spill_count: 0
    .wavefront_size: 32
    .workgroup_processor_mode: 1
  - .args:
      - .address_space:  global
        .offset:         0
        .size:           8
        .value_kind:     global_buffer
      - .actual_access:  read_only
        .address_space:  global
        .offset:         8
        .size:           8
        .value_kind:     global_buffer
      - .actual_access:  read_only
        .address_space:  global
        .offset:         16
        .size:           8
        .value_kind:     global_buffer
      - .actual_access:  read_only
        .address_space:  global
        .offset:         24
        .size:           8
        .value_kind:     global_buffer
      - .actual_access:  read_only
        .address_space:  global
        .offset:         32
        .size:           8
        .value_kind:     global_buffer
      - .offset:         40
        .size:           4
        .value_kind:     by_value
      - .offset:         44
        .size:           4
        .value_kind:     by_value
      - .offset:         48
        .size:           4
        .value_kind:     hidden_block_count_x
      - .offset:         52
        .size:           4
        .value_kind:     hidden_block_count_y
      - .offset:         56
        .size:           4
        .value_kind:     hidden_block_count_z
      - .offset:         60
        .size:           2
        .value_kind:     hidden_group_size_x
      - .offset:         62
        .size:           2
        .value_kind:     hidden_group_size_y
      - .offset:         64
        .size:           2
        .value_kind:     hidden_group_size_z
      - .offset:         66
        .size:           2
        .value_kind:     hidden_remainder_x
      - .offset:         68
        .size:           2
        .value_kind:     hidden_remainder_y
      - .offset:         70
        .size:           2
        .value_kind:     hidden_remainder_z
      - .offset:         88
        .size:           8
        .value_kind:     hidden_global_offset_x
      - .offset:         96
        .size:           8
        .value_kind:     hidden_global_offset_y
      - .offset:         104
        .size:           8
        .value_kind:     hidden_global_offset_z
      - .offset:         112
        .size:           2
        .value_kind:     hidden_grid_dims
    .group_segment_fixed_size: 136
    .kernarg_segment_align: 8
    .kernarg_segment_size: 304
    .language:       OpenCL C
    .language_version:
      - 2
      - 0
    .max_flat_workgroup_size: 1024
    .name:           _Z35generalAddBiasResidualPostLayerNormI6__halfLi32EEvPT_PKS1_S4_S4_S4_fi
    .private_segment_fixed_size: 0
    .sgpr_count:     23
    .sgpr_spill_count: 0
    .symbol:         _Z35generalAddBiasResidualPostLayerNormI6__halfLi32EEvPT_PKS1_S4_S4_S4_fi.kd
    .uniform_work_group_size: 1
    .uses_dynamic_stack: false
    .vgpr_count:     16
    .vgpr_spill_count: 0
    .wavefront_size: 32
    .workgroup_processor_mode: 1
  - .args:
      - .address_space:  global
        .offset:         0
        .size:           8
        .value_kind:     global_buffer
      - .actual_access:  read_only
        .address_space:  global
        .offset:         8
        .size:           8
        .value_kind:     global_buffer
      - .actual_access:  read_only
        .address_space:  global
        .offset:         16
        .size:           8
        .value_kind:     global_buffer
      - .actual_access:  read_only
        .address_space:  global
        .offset:         24
        .size:           8
        .value_kind:     global_buffer
      - .actual_access:  read_only
        .address_space:  global
        .offset:         32
        .size:           8
        .value_kind:     global_buffer
      - .offset:         40
        .size:           4
        .value_kind:     by_value
      - .offset:         44
        .size:           4
        .value_kind:     by_value
      - .offset:         48
        .size:           4
        .value_kind:     hidden_block_count_x
      - .offset:         52
        .size:           4
        .value_kind:     hidden_block_count_y
      - .offset:         56
        .size:           4
        .value_kind:     hidden_block_count_z
      - .offset:         60
        .size:           2
        .value_kind:     hidden_group_size_x
      - .offset:         62
        .size:           2
        .value_kind:     hidden_group_size_y
      - .offset:         64
        .size:           2
        .value_kind:     hidden_group_size_z
      - .offset:         66
        .size:           2
        .value_kind:     hidden_remainder_x
      - .offset:         68
        .size:           2
        .value_kind:     hidden_remainder_y
      - .offset:         70
        .size:           2
        .value_kind:     hidden_remainder_z
      - .offset:         88
        .size:           8
        .value_kind:     hidden_global_offset_x
      - .offset:         96
        .size:           8
        .value_kind:     hidden_global_offset_y
      - .offset:         104
        .size:           8
        .value_kind:     hidden_global_offset_z
      - .offset:         112
        .size:           2
        .value_kind:     hidden_grid_dims
    .group_segment_fixed_size: 72
    .kernarg_segment_align: 8
    .kernarg_segment_size: 304
    .language:       OpenCL C
    .language_version:
      - 2
      - 0
    .max_flat_workgroup_size: 1024
    .name:           _Z30addBiasResidualPostLayerNormV2I14__hip_bfloat16Li64EEvPT_PKS1_S4_S4_S4_fi
    .private_segment_fixed_size: 0
    .sgpr_count:     18
    .sgpr_spill_count: 0
    .symbol:         _Z30addBiasResidualPostLayerNormV2I14__hip_bfloat16Li64EEvPT_PKS1_S4_S4_S4_fi.kd
    .uniform_work_group_size: 1
    .uses_dynamic_stack: false
    .vgpr_count:     40
    .vgpr_spill_count: 0
    .wavefront_size: 32
    .workgroup_processor_mode: 1
  - .args:
      - .address_space:  global
        .offset:         0
        .size:           8
        .value_kind:     global_buffer
      - .actual_access:  read_only
        .address_space:  global
        .offset:         8
        .size:           8
        .value_kind:     global_buffer
      - .actual_access:  read_only
        .address_space:  global
        .offset:         16
        .size:           8
        .value_kind:     global_buffer
      - .actual_access:  read_only
        .address_space:  global
        .offset:         24
        .size:           8
        .value_kind:     global_buffer
      - .actual_access:  read_only
        .address_space:  global
        .offset:         32
        .size:           8
        .value_kind:     global_buffer
      - .offset:         40
        .size:           4
        .value_kind:     by_value
      - .offset:         44
        .size:           4
        .value_kind:     by_value
      - .offset:         48
        .size:           4
        .value_kind:     hidden_block_count_x
      - .offset:         52
        .size:           4
        .value_kind:     hidden_block_count_y
      - .offset:         56
        .size:           4
        .value_kind:     hidden_block_count_z
      - .offset:         60
        .size:           2
        .value_kind:     hidden_group_size_x
      - .offset:         62
        .size:           2
        .value_kind:     hidden_group_size_y
      - .offset:         64
        .size:           2
        .value_kind:     hidden_group_size_z
      - .offset:         66
        .size:           2
        .value_kind:     hidden_remainder_x
      - .offset:         68
        .size:           2
        .value_kind:     hidden_remainder_y
      - .offset:         70
        .size:           2
        .value_kind:     hidden_remainder_z
      - .offset:         88
        .size:           8
        .value_kind:     hidden_global_offset_x
      - .offset:         96
        .size:           8
        .value_kind:     hidden_global_offset_y
      - .offset:         104
        .size:           8
        .value_kind:     hidden_global_offset_z
      - .offset:         112
        .size:           2
        .value_kind:     hidden_grid_dims
    .group_segment_fixed_size: 136
    .kernarg_segment_align: 8
    .kernarg_segment_size: 304
    .language:       OpenCL C
    .language_version:
      - 2
      - 0
    .max_flat_workgroup_size: 1024
    .name:           _Z30addBiasResidualPostLayerNormV2I14__hip_bfloat16Li32EEvPT_PKS1_S4_S4_S4_fi
    .private_segment_fixed_size: 0
    .sgpr_count:     14
    .sgpr_spill_count: 0
    .symbol:         _Z30addBiasResidualPostLayerNormV2I14__hip_bfloat16Li32EEvPT_PKS1_S4_S4_S4_fi.kd
    .uniform_work_group_size: 1
    .uses_dynamic_stack: false
    .vgpr_count:     42
    .vgpr_spill_count: 0
    .wavefront_size: 32
    .workgroup_processor_mode: 1
  - .args:
      - .address_space:  global
        .offset:         0
        .size:           8
        .value_kind:     global_buffer
      - .actual_access:  read_only
        .address_space:  global
        .offset:         8
        .size:           8
        .value_kind:     global_buffer
      - .actual_access:  read_only
        .address_space:  global
        .offset:         16
        .size:           8
        .value_kind:     global_buffer
      - .actual_access:  read_only
        .address_space:  global
        .offset:         24
        .size:           8
        .value_kind:     global_buffer
      - .actual_access:  read_only
        .address_space:  global
        .offset:         32
        .size:           8
        .value_kind:     global_buffer
      - .offset:         40
        .size:           4
        .value_kind:     by_value
      - .offset:         44
        .size:           4
        .value_kind:     by_value
      - .offset:         48
        .size:           4
        .value_kind:     hidden_block_count_x
      - .offset:         52
        .size:           4
        .value_kind:     hidden_block_count_y
      - .offset:         56
        .size:           4
        .value_kind:     hidden_block_count_z
      - .offset:         60
        .size:           2
        .value_kind:     hidden_group_size_x
      - .offset:         62
        .size:           2
        .value_kind:     hidden_group_size_y
      - .offset:         64
        .size:           2
        .value_kind:     hidden_group_size_z
      - .offset:         66
        .size:           2
        .value_kind:     hidden_remainder_x
      - .offset:         68
        .size:           2
        .value_kind:     hidden_remainder_y
      - .offset:         70
        .size:           2
        .value_kind:     hidden_remainder_z
      - .offset:         88
        .size:           8
        .value_kind:     hidden_global_offset_x
      - .offset:         96
        .size:           8
        .value_kind:     hidden_global_offset_y
      - .offset:         104
        .size:           8
        .value_kind:     hidden_global_offset_z
      - .offset:         112
        .size:           2
        .value_kind:     hidden_grid_dims
    .group_segment_fixed_size: 72
    .kernarg_segment_align: 8
    .kernarg_segment_size: 304
    .language:       OpenCL C
    .language_version:
      - 2
      - 0
    .max_flat_workgroup_size: 1024
    .name:           _Z28addBiasResidualPostLayerNormI14__hip_bfloat16Li1ELi64EEvPT_PKS1_S4_S4_S4_fi
    .private_segment_fixed_size: 0
    .sgpr_count:     18
    .sgpr_spill_count: 0
    .symbol:         _Z28addBiasResidualPostLayerNormI14__hip_bfloat16Li1ELi64EEvPT_PKS1_S4_S4_S4_fi.kd
    .uniform_work_group_size: 1
    .uses_dynamic_stack: false
    .vgpr_count:     18
    .vgpr_spill_count: 0
    .wavefront_size: 32
    .workgroup_processor_mode: 1
  - .args:
      - .address_space:  global
        .offset:         0
        .size:           8
        .value_kind:     global_buffer
      - .actual_access:  read_only
        .address_space:  global
        .offset:         8
        .size:           8
        .value_kind:     global_buffer
      - .actual_access:  read_only
        .address_space:  global
        .offset:         16
        .size:           8
        .value_kind:     global_buffer
      - .actual_access:  read_only
        .address_space:  global
        .offset:         24
        .size:           8
        .value_kind:     global_buffer
      - .actual_access:  read_only
        .address_space:  global
        .offset:         32
        .size:           8
        .value_kind:     global_buffer
      - .offset:         40
        .size:           4
        .value_kind:     by_value
      - .offset:         44
        .size:           4
        .value_kind:     by_value
      - .offset:         48
        .size:           4
        .value_kind:     hidden_block_count_x
      - .offset:         52
        .size:           4
        .value_kind:     hidden_block_count_y
      - .offset:         56
        .size:           4
        .value_kind:     hidden_block_count_z
      - .offset:         60
        .size:           2
        .value_kind:     hidden_group_size_x
      - .offset:         62
        .size:           2
        .value_kind:     hidden_group_size_y
      - .offset:         64
        .size:           2
        .value_kind:     hidden_group_size_z
      - .offset:         66
        .size:           2
        .value_kind:     hidden_remainder_x
      - .offset:         68
        .size:           2
        .value_kind:     hidden_remainder_y
      - .offset:         70
        .size:           2
        .value_kind:     hidden_remainder_z
      - .offset:         88
        .size:           8
        .value_kind:     hidden_global_offset_x
      - .offset:         96
        .size:           8
        .value_kind:     hidden_global_offset_y
      - .offset:         104
        .size:           8
        .value_kind:     hidden_global_offset_z
      - .offset:         112
        .size:           2
        .value_kind:     hidden_grid_dims
    .group_segment_fixed_size: 72
    .kernarg_segment_align: 8
    .kernarg_segment_size: 304
    .language:       OpenCL C
    .language_version:
      - 2
      - 0
    .max_flat_workgroup_size: 1024
    .name:           _Z28addBiasResidualPostLayerNormI14__hip_bfloat16Li2ELi64EEvPT_PKS1_S4_S4_S4_fi
    .private_segment_fixed_size: 0
    .sgpr_count:     18
    .sgpr_spill_count: 0
    .symbol:         _Z28addBiasResidualPostLayerNormI14__hip_bfloat16Li2ELi64EEvPT_PKS1_S4_S4_S4_fi.kd
    .uniform_work_group_size: 1
    .uses_dynamic_stack: false
    .vgpr_count:     20
    .vgpr_spill_count: 0
    .wavefront_size: 32
    .workgroup_processor_mode: 1
  - .args:
      - .address_space:  global
        .offset:         0
        .size:           8
        .value_kind:     global_buffer
      - .actual_access:  read_only
        .address_space:  global
        .offset:         8
        .size:           8
        .value_kind:     global_buffer
      - .actual_access:  read_only
        .address_space:  global
        .offset:         16
        .size:           8
        .value_kind:     global_buffer
      - .actual_access:  read_only
        .address_space:  global
        .offset:         24
        .size:           8
        .value_kind:     global_buffer
      - .actual_access:  read_only
        .address_space:  global
        .offset:         32
        .size:           8
        .value_kind:     global_buffer
      - .offset:         40
        .size:           4
        .value_kind:     by_value
      - .offset:         44
        .size:           4
        .value_kind:     by_value
      - .offset:         48
        .size:           4
        .value_kind:     hidden_block_count_x
      - .offset:         52
        .size:           4
        .value_kind:     hidden_block_count_y
      - .offset:         56
        .size:           4
        .value_kind:     hidden_block_count_z
      - .offset:         60
        .size:           2
        .value_kind:     hidden_group_size_x
      - .offset:         62
        .size:           2
        .value_kind:     hidden_group_size_y
      - .offset:         64
        .size:           2
        .value_kind:     hidden_group_size_z
      - .offset:         66
        .size:           2
        .value_kind:     hidden_remainder_x
      - .offset:         68
        .size:           2
        .value_kind:     hidden_remainder_y
      - .offset:         70
        .size:           2
        .value_kind:     hidden_remainder_z
      - .offset:         88
        .size:           8
        .value_kind:     hidden_global_offset_x
      - .offset:         96
        .size:           8
        .value_kind:     hidden_global_offset_y
      - .offset:         104
        .size:           8
        .value_kind:     hidden_global_offset_z
      - .offset:         112
        .size:           2
        .value_kind:     hidden_grid_dims
    .group_segment_fixed_size: 72
    .kernarg_segment_align: 8
    .kernarg_segment_size: 304
    .language:       OpenCL C
    .language_version:
      - 2
      - 0
    .max_flat_workgroup_size: 1024
    .name:           _Z35generalAddBiasResidualPostLayerNormI14__hip_bfloat16Li64EEvPT_PKS1_S4_S4_S4_fi
    .private_segment_fixed_size: 0
    .sgpr_count:     23
    .sgpr_spill_count: 0
    .symbol:         _Z35generalAddBiasResidualPostLayerNormI14__hip_bfloat16Li64EEvPT_PKS1_S4_S4_S4_fi.kd
    .uniform_work_group_size: 1
    .uses_dynamic_stack: false
    .vgpr_count:     17
    .vgpr_spill_count: 0
    .wavefront_size: 32
    .workgroup_processor_mode: 1
  - .args:
      - .address_space:  global
        .offset:         0
        .size:           8
        .value_kind:     global_buffer
      - .actual_access:  read_only
        .address_space:  global
        .offset:         8
        .size:           8
        .value_kind:     global_buffer
      - .actual_access:  read_only
        .address_space:  global
        .offset:         16
        .size:           8
        .value_kind:     global_buffer
      - .actual_access:  read_only
        .address_space:  global
        .offset:         24
        .size:           8
        .value_kind:     global_buffer
      - .actual_access:  read_only
        .address_space:  global
        .offset:         32
        .size:           8
        .value_kind:     global_buffer
      - .offset:         40
        .size:           4
        .value_kind:     by_value
      - .offset:         44
        .size:           4
        .value_kind:     by_value
      - .offset:         48
        .size:           4
        .value_kind:     hidden_block_count_x
      - .offset:         52
        .size:           4
        .value_kind:     hidden_block_count_y
      - .offset:         56
        .size:           4
        .value_kind:     hidden_block_count_z
      - .offset:         60
        .size:           2
        .value_kind:     hidden_group_size_x
      - .offset:         62
        .size:           2
        .value_kind:     hidden_group_size_y
      - .offset:         64
        .size:           2
        .value_kind:     hidden_group_size_z
      - .offset:         66
        .size:           2
        .value_kind:     hidden_remainder_x
      - .offset:         68
        .size:           2
        .value_kind:     hidden_remainder_y
      - .offset:         70
        .size:           2
        .value_kind:     hidden_remainder_z
      - .offset:         88
        .size:           8
        .value_kind:     hidden_global_offset_x
      - .offset:         96
        .size:           8
        .value_kind:     hidden_global_offset_y
      - .offset:         104
        .size:           8
        .value_kind:     hidden_global_offset_z
      - .offset:         112
        .size:           2
        .value_kind:     hidden_grid_dims
    .group_segment_fixed_size: 136
    .kernarg_segment_align: 8
    .kernarg_segment_size: 304
    .language:       OpenCL C
    .language_version:
      - 2
      - 0
    .max_flat_workgroup_size: 1024
    .name:           _Z28addBiasResidualPostLayerNormI14__hip_bfloat16Li1ELi32EEvPT_PKS1_S4_S4_S4_fi
    .private_segment_fixed_size: 0
    .sgpr_count:     18
    .sgpr_spill_count: 0
    .symbol:         _Z28addBiasResidualPostLayerNormI14__hip_bfloat16Li1ELi32EEvPT_PKS1_S4_S4_S4_fi.kd
    .uniform_work_group_size: 1
    .uses_dynamic_stack: false
    .vgpr_count:     17
    .vgpr_spill_count: 0
    .wavefront_size: 32
    .workgroup_processor_mode: 1
  - .args:
      - .address_space:  global
        .offset:         0
        .size:           8
        .value_kind:     global_buffer
      - .actual_access:  read_only
        .address_space:  global
        .offset:         8
        .size:           8
        .value_kind:     global_buffer
      - .actual_access:  read_only
        .address_space:  global
        .offset:         16
        .size:           8
        .value_kind:     global_buffer
      - .actual_access:  read_only
        .address_space:  global
        .offset:         24
        .size:           8
        .value_kind:     global_buffer
      - .actual_access:  read_only
        .address_space:  global
        .offset:         32
        .size:           8
        .value_kind:     global_buffer
      - .offset:         40
        .size:           4
        .value_kind:     by_value
      - .offset:         44
        .size:           4
        .value_kind:     by_value
      - .offset:         48
        .size:           4
        .value_kind:     hidden_block_count_x
      - .offset:         52
        .size:           4
        .value_kind:     hidden_block_count_y
      - .offset:         56
        .size:           4
        .value_kind:     hidden_block_count_z
      - .offset:         60
        .size:           2
        .value_kind:     hidden_group_size_x
      - .offset:         62
        .size:           2
        .value_kind:     hidden_group_size_y
      - .offset:         64
        .size:           2
        .value_kind:     hidden_group_size_z
      - .offset:         66
        .size:           2
        .value_kind:     hidden_remainder_x
      - .offset:         68
        .size:           2
        .value_kind:     hidden_remainder_y
      - .offset:         70
        .size:           2
        .value_kind:     hidden_remainder_z
      - .offset:         88
        .size:           8
        .value_kind:     hidden_global_offset_x
      - .offset:         96
        .size:           8
        .value_kind:     hidden_global_offset_y
      - .offset:         104
        .size:           8
        .value_kind:     hidden_global_offset_z
      - .offset:         112
        .size:           2
        .value_kind:     hidden_grid_dims
    .group_segment_fixed_size: 136
    .kernarg_segment_align: 8
    .kernarg_segment_size: 304
    .language:       OpenCL C
    .language_version:
      - 2
      - 0
    .max_flat_workgroup_size: 1024
    .name:           _Z28addBiasResidualPostLayerNormI14__hip_bfloat16Li2ELi32EEvPT_PKS1_S4_S4_S4_fi
    .private_segment_fixed_size: 0
    .sgpr_count:     18
    .sgpr_spill_count: 0
    .symbol:         _Z28addBiasResidualPostLayerNormI14__hip_bfloat16Li2ELi32EEvPT_PKS1_S4_S4_S4_fi.kd
    .uniform_work_group_size: 1
    .uses_dynamic_stack: false
    .vgpr_count:     19
    .vgpr_spill_count: 0
    .wavefront_size: 32
    .workgroup_processor_mode: 1
  - .args:
      - .address_space:  global
        .offset:         0
        .size:           8
        .value_kind:     global_buffer
      - .actual_access:  read_only
        .address_space:  global
        .offset:         8
        .size:           8
        .value_kind:     global_buffer
      - .actual_access:  read_only
        .address_space:  global
        .offset:         16
        .size:           8
        .value_kind:     global_buffer
      - .actual_access:  read_only
        .address_space:  global
        .offset:         24
        .size:           8
        .value_kind:     global_buffer
      - .actual_access:  read_only
        .address_space:  global
        .offset:         32
        .size:           8
        .value_kind:     global_buffer
      - .offset:         40
        .size:           4
        .value_kind:     by_value
      - .offset:         44
        .size:           4
        .value_kind:     by_value
      - .offset:         48
        .size:           4
        .value_kind:     hidden_block_count_x
      - .offset:         52
        .size:           4
        .value_kind:     hidden_block_count_y
      - .offset:         56
        .size:           4
        .value_kind:     hidden_block_count_z
      - .offset:         60
        .size:           2
        .value_kind:     hidden_group_size_x
      - .offset:         62
        .size:           2
        .value_kind:     hidden_group_size_y
      - .offset:         64
        .size:           2
        .value_kind:     hidden_group_size_z
      - .offset:         66
        .size:           2
        .value_kind:     hidden_remainder_x
      - .offset:         68
        .size:           2
        .value_kind:     hidden_remainder_y
      - .offset:         70
        .size:           2
        .value_kind:     hidden_remainder_z
      - .offset:         88
        .size:           8
        .value_kind:     hidden_global_offset_x
      - .offset:         96
        .size:           8
        .value_kind:     hidden_global_offset_y
      - .offset:         104
        .size:           8
        .value_kind:     hidden_global_offset_z
      - .offset:         112
        .size:           2
        .value_kind:     hidden_grid_dims
    .group_segment_fixed_size: 136
    .kernarg_segment_align: 8
    .kernarg_segment_size: 304
    .language:       OpenCL C
    .language_version:
      - 2
      - 0
    .max_flat_workgroup_size: 1024
    .name:           _Z35generalAddBiasResidualPostLayerNormI14__hip_bfloat16Li32EEvPT_PKS1_S4_S4_S4_fi
    .private_segment_fixed_size: 0
    .sgpr_count:     23
    .sgpr_spill_count: 0
    .symbol:         _Z35generalAddBiasResidualPostLayerNormI14__hip_bfloat16Li32EEvPT_PKS1_S4_S4_S4_fi.kd
    .uniform_work_group_size: 1
    .uses_dynamic_stack: false
    .vgpr_count:     16
    .vgpr_spill_count: 0
    .wavefront_size: 32
    .workgroup_processor_mode: 1
amdhsa.target:   amdgcn-amd-amdhsa--gfx1030
amdhsa.version:
  - 1
  - 2
...

	.end_amdgpu_metadata
